;; amdgpu-corpus repo=ROCm/rocFFT kind=compiled arch=gfx1201 opt=O3
	.text
	.amdgcn_target "amdgcn-amd-amdhsa--gfx1201"
	.amdhsa_code_object_version 6
	.protected	bluestein_single_fwd_len2700_dim1_half_op_CI_CI ; -- Begin function bluestein_single_fwd_len2700_dim1_half_op_CI_CI
	.globl	bluestein_single_fwd_len2700_dim1_half_op_CI_CI
	.p2align	8
	.type	bluestein_single_fwd_len2700_dim1_half_op_CI_CI,@function
bluestein_single_fwd_len2700_dim1_half_op_CI_CI: ; @bluestein_single_fwd_len2700_dim1_half_op_CI_CI
; %bb.0:
	s_load_b128 s[12:15], s[0:1], 0x28
	v_mul_u32_u24_e32 v1, 0x2d9, v0
	s_mov_b32 s2, exec_lo
	v_mov_b32_e32 v3, 0
	s_delay_alu instid0(VALU_DEP_2) | instskip(NEXT) | instid1(VALU_DEP_1)
	v_lshrrev_b32_e32 v1, 16, v1
	v_add_nc_u32_e32 v2, ttmp9, v1
	s_wait_kmcnt 0x0
	s_delay_alu instid0(VALU_DEP_1)
	v_cmpx_gt_u64_e64 s[12:13], v[2:3]
	s_cbranch_execz .LBB0_2
; %bb.1:
	s_clause 0x1
	s_load_b128 s[8:11], s[0:1], 0x18
	s_load_b128 s[4:7], s[0:1], 0x0
	v_mul_lo_u16 v1, 0x5a, v1
	v_mov_b32_e32 v4, v2
	s_movk_i32 s12, 0xe548
	s_mov_b32 s13, -1
	s_load_b64 s[0:1], s[0:1], 0x38
	v_sub_nc_u16 v91, v0, v1
	scratch_store_b64 off, v[4:5], off offset:196 ; 8-byte Folded Spill
	v_and_b32_e32 v120, 0xffff, v91
	s_wait_kmcnt 0x0
	s_load_b128 s[16:19], s[8:9], 0x0
	s_wait_kmcnt 0x0
	v_mad_co_u64_u32 v[0:1], null, s18, v2, 0
	v_mad_co_u64_u32 v[2:3], null, s16, v120, 0
	s_mul_u64 s[2:3], s[16:17], 0xe10
	s_mul_u64 s[8:9], s[16:17], s[12:13]
	s_delay_alu instid0(VALU_DEP_1) | instskip(NEXT) | instid1(VALU_DEP_1)
	v_mad_co_u64_u32 v[4:5], null, s19, v4, v[1:2]
	v_mov_b32_e32 v1, v4
	s_delay_alu instid0(VALU_DEP_3)
	v_mad_co_u64_u32 v[5:6], null, s17, v120, v[3:4]
	v_lshlrev_b32_e32 v158, 2, v120
	s_clause 0x1
	global_load_b32 v36, v158, s[4:5]
	global_load_b32 v34, v158, s[4:5] offset:3600
	v_mov_b32_e32 v3, v5
	v_lshlrev_b64_e32 v[0:1], 2, v[0:1]
	global_load_b32 v32, v158, s[4:5] offset:7200
	v_add_nc_u32_e32 v238, 0x200, v158
	v_add_nc_u32_e32 v241, 0x1000, v158
	v_lshlrev_b64_e32 v[2:3], 2, v[2:3]
	v_add_nc_u32_e32 v251, 0x2000, v158
	v_add_co_u32 v0, vcc_lo, s14, v0
	v_add_co_ci_u32_e32 v1, vcc_lo, s15, v1, vcc_lo
	v_add_nc_u32_e32 v96, 0x2400, v158
	s_delay_alu instid0(VALU_DEP_3) | instskip(SKIP_1) | instid1(VALU_DEP_3)
	v_add_co_u32 v0, vcc_lo, v0, v2
	s_wait_alu 0xfffd
	v_add_co_ci_u32_e32 v1, vcc_lo, v1, v3, vcc_lo
	v_add_nc_u32_e32 v237, 0x400, v158
	v_add_nc_u32_e32 v143, 0x1400, v158
	;; [unrolled: 1-line block ×3, first 2 shown]
	global_load_b32 v6, v[0:1], off
	v_add_co_u32 v0, vcc_lo, v0, s2
	s_wait_alu 0xfffd
	v_add_co_ci_u32_e32 v1, vcc_lo, s3, v1, vcc_lo
	v_add_nc_u32_e32 v165, 0xa00, v158
	v_add_nc_u32_e32 v250, 0xc00, v158
	v_add_co_u32 v71, null, 0x5a, v120
	global_load_b32 v5, v[0:1], off
	v_add_co_u32 v0, vcc_lo, v0, s2
	s_wait_alu 0xfffd
	v_add_co_ci_u32_e32 v1, vcc_lo, s3, v1, vcc_lo
	v_add_co_u32 v72, null, 0xb4, v120
	v_add_nc_u32_e32 v230, 0x168, v120
	global_load_b32 v9, v[0:1], off
	v_add_co_u32 v0, vcc_lo, v0, s8
	s_wait_alu 0xfffd
	v_add_co_ci_u32_e32 v1, vcc_lo, s9, v1, vcc_lo
	global_load_b32 v35, v158, s[4:5] offset:360
	global_load_b32 v8, v[0:1], off
	v_add_co_u32 v0, vcc_lo, v0, s2
	s_wait_alu 0xfffd
	v_add_co_ci_u32_e32 v1, vcc_lo, s3, v1, vcc_lo
	global_load_b32 v33, v158, s[4:5] offset:3960
	v_add_co_u32 v2, vcc_lo, v0, s2
	s_wait_alu 0xfffd
	v_add_co_ci_u32_e32 v3, vcc_lo, s3, v1, vcc_lo
	global_load_b32 v7, v[0:1], off
	v_add_co_u32 v0, vcc_lo, v2, s8
	s_wait_alu 0xfffd
	v_add_co_ci_u32_e32 v1, vcc_lo, s9, v3, vcc_lo
	v_add_nc_u32_e32 v213, 0x1c2, v120
	s_delay_alu instid0(VALU_DEP_3) | instskip(SKIP_1) | instid1(VALU_DEP_3)
	v_add_co_u32 v12, vcc_lo, v0, s2
	s_wait_alu 0xfffd
	v_add_co_ci_u32_e32 v13, vcc_lo, s3, v1, vcc_lo
	global_load_b32 v27, v158, s[4:5] offset:4320
	global_load_b32 v11, v[12:13], off
	global_load_b32 v31, v158, s[4:5] offset:7560
	global_load_b32 v10, v[2:3], off
	v_add_co_u32 v12, vcc_lo, v12, s2
	s_wait_alu 0xfffd
	v_add_co_ci_u32_e32 v13, vcc_lo, s3, v13, vcc_lo
	global_load_b32 v23, v158, s[4:5] offset:7920
	global_load_b32 v4, v[12:13], off
	global_load_b32 v30, v158, s[4:5] offset:720
	global_load_b32 v3, v[0:1], off
	v_add_co_u32 v0, vcc_lo, v12, s8
	s_wait_alu 0xfffd
	v_add_co_ci_u32_e32 v1, vcc_lo, s9, v13, vcc_lo
	global_load_b32 v28, v158, s[4:5] offset:1080
	global_load_b32 v2, v[0:1], off
	s_clause 0x9
	global_load_b32 v26, v158, s[4:5] offset:8280
	global_load_b32 v29, v158, s[4:5] offset:4680
	;; [unrolled: 1-line block ×10, first 2 shown]
	v_add_co_u32 v0, vcc_lo, v0, s2
	s_wait_alu 0xfffd
	v_add_co_ci_u32_e32 v1, vcc_lo, s3, v1, vcc_lo
	v_add_co_u32 v229, null, 0x21c, v120
	v_add_co_u32 v212, null, 0x276, v120
	v_add_co_u32 v85, null, 0x2d0, v120
	v_add_co_u32 v90, null, 0x32a, v120
	v_add_nc_u32_e32 v163, 0x1c00, v158
	s_wait_loadcnt 0x1d
	v_lshrrev_b32_e32 v13, 16, v36
	s_wait_loadcnt 0x1c
	v_lshrrev_b32_e32 v37, 16, v34
	scratch_store_b32 off, v36, off offset:244 ; 4-byte Folded Spill
	v_mov_b32_e32 v14, v13
	scratch_store_b32 off, v14, off offset:240 ; 4-byte Folded Spill
	s_wait_loadcnt 0x1a
	v_lshrrev_b32_e32 v12, 16, v6
	v_mul_f16_e32 v13, v14, v6
	s_delay_alu instid0(VALU_DEP_2) | instskip(NEXT) | instid1(VALU_DEP_2)
	v_mul_f16_e32 v14, v14, v12
	v_fma_f16 v12, v36, v12, -v13
	s_wait_loadcnt 0x19
	v_lshrrev_b32_e32 v15, 16, v5
	v_mul_f16_e32 v16, v37, v5
	v_fmac_f16_e32 v14, v36, v6
	v_lshrrev_b32_e32 v36, 16, v32
	s_delay_alu instid0(VALU_DEP_4) | instskip(NEXT) | instid1(VALU_DEP_4)
	v_mul_f16_e32 v6, v37, v15
	v_fma_f16 v13, v34, v15, -v16
	s_delay_alu instid0(VALU_DEP_4) | instskip(SKIP_4) | instid1(VALU_DEP_3)
	v_pack_b32_f16 v12, v14, v12
	s_wait_loadcnt 0x18
	v_lshrrev_b32_e32 v15, 16, v9
	v_mul_f16_e32 v14, v36, v9
	v_fmac_f16_e32 v6, v34, v5
	v_mul_f16_e32 v5, v36, v15
	s_delay_alu instid0(VALU_DEP_3)
	v_fma_f16 v14, v32, v15, -v14
	s_wait_loadcnt 0x17
	v_lshrrev_b32_e32 v15, 16, v35
	v_pack_b32_f16 v6, v6, v13
	v_fmac_f16_e32 v5, v32, v9
	s_wait_loadcnt 0x16
	v_lshrrev_b32_e32 v9, 16, v8
	v_mul_f16_e32 v13, v15, v8
	scratch_store_b32 off, v15, off offset:228 ; 4-byte Folded Spill
	v_pack_b32_f16 v5, v5, v14
	s_wait_loadcnt 0x15
	v_lshrrev_b32_e32 v14, 16, v33
	v_fma_f16 v13, v35, v9, -v13
	v_mul_f16_e32 v9, v15, v9
	ds_store_b32 v158, v6 offset:3600
	ds_store_b32 v158, v5 offset:7200
	s_wait_loadcnt 0x14
	v_mul_f16_e32 v6, v14, v7
	v_fmac_f16_e32 v9, v35, v8
	v_lshrrev_b32_e32 v8, 16, v7
	s_delay_alu instid0(VALU_DEP_2) | instskip(NEXT) | instid1(VALU_DEP_2)
	v_pack_b32_f16 v5, v9, v13
	v_fma_f16 v6, v33, v8, -v6
	v_mul_f16_e32 v8, v14, v8
	s_wait_loadcnt 0x12
	v_lshrrev_b32_e32 v9, 16, v11
	ds_store_2addr_b32 v158, v12, v5 offset1:90
	s_wait_loadcnt 0x11
	v_lshrrev_b32_e32 v12, 16, v31
	s_clause 0x2
	scratch_store_b32 off, v34, off offset:236
	scratch_store_b32 off, v35, off offset:224
	;; [unrolled: 1-line block ×3, first 2 shown]
	v_lshrrev_b32_e32 v14, 16, v27
	scratch_store_b32 off, v12, off offset:204 ; 4-byte Folded Spill
	v_fmac_f16_e32 v8, v33, v7
	s_wait_loadcnt 0xd
	scratch_store_b32 off, v30, off offset:188 ; 4-byte Folded Spill
	v_mul_f16_e32 v7, v14, v11
	v_mul_f16_e32 v5, v14, v9
	v_pack_b32_f16 v6, v8, v6
	s_delay_alu instid0(VALU_DEP_3) | instskip(SKIP_1) | instid1(VALU_DEP_4)
	v_fma_f16 v7, v27, v9, -v7
	v_lshrrev_b32_e32 v9, 16, v10
	v_fmac_f16_e32 v5, v27, v11
	v_mul_f16_e32 v11, v12, v10
	s_delay_alu instid0(VALU_DEP_2) | instskip(NEXT) | instid1(VALU_DEP_2)
	v_pack_b32_f16 v5, v5, v7
	v_fma_f16 v11, v31, v9, -v11
	v_mul_f16_e32 v9, v12, v9
	v_add_nc_u32_e32 v12, 0xe00, v158
	v_lshrrev_b32_e32 v7, 16, v4
	s_delay_alu instid0(VALU_DEP_3)
	v_fmac_f16_e32 v9, v31, v10
	v_lshrrev_b32_e32 v10, 16, v23
	ds_store_2addr_b32 v12, v6, v5 offset0:94 offset1:184
	v_pack_b32_f16 v8, v9, v11
	v_mul_f16_e32 v9, v10, v4
	v_mul_f16_e32 v5, v10, v7
	s_wait_loadcnt 0x7
	v_lshrrev_b32_e32 v11, 16, v21
	s_delay_alu instid0(VALU_DEP_3) | instskip(NEXT) | instid1(VALU_DEP_3)
	v_fma_f16 v6, v23, v7, -v9
	v_fmac_f16_e32 v5, v23, v4
	v_lshrrev_b32_e32 v7, 16, v3
	scratch_store_b32 off, v11, off offset:132 ; 4-byte Folded Spill
	v_pack_b32_f16 v5, v5, v6
	v_lshrrev_b32_e32 v6, 16, v28
	scratch_store_b32 off, v10, off offset:160 ; 4-byte Folded Spill
	v_lshrrev_b32_e32 v10, 16, v30
	scratch_store_b32 off, v36, off offset:216 ; 4-byte Folded Spill
	ds_store_2addr_b32 v163, v8, v5 offset0:98 offset1:188
	v_mul_f16_e32 v5, v6, v2
	global_load_b32 v8, v[0:1], off
	v_mul_f16_e32 v4, v10, v3
	s_clause 0x2
	scratch_store_b32 off, v31, off offset:192
	scratch_store_b32 off, v10, off offset:184
	;; [unrolled: 1-line block ×3, first 2 shown]
	v_fma_f16 v4, v30, v7, -v4
	v_mul_f16_e32 v7, v10, v7
	v_lshrrev_b32_e32 v10, 16, v29
	s_clause 0x4
	scratch_store_b32 off, v27, off offset:180
	scratch_store_b32 off, v28, off offset:168
	;; [unrolled: 1-line block ×5, first 2 shown]
	v_fmac_f16_e32 v7, v30, v3
	v_lshrrev_b32_e32 v3, 16, v2
	scratch_store_b32 off, v10, off offset:156 ; 4-byte Folded Spill
	v_pack_b32_f16 v4, v7, v4
	v_fma_f16 v5, v28, v3, -v5
	v_mul_f16_e32 v3, v6, v3
	s_delay_alu instid0(VALU_DEP_1) | instskip(SKIP_1) | instid1(VALU_DEP_2)
	v_fmac_f16_e32 v3, v28, v2
	v_add_co_u32 v2, vcc_lo, v0, s2
	v_pack_b32_f16 v5, v3, v5
	s_wait_alu 0xfffd
	v_add_co_ci_u32_e32 v3, vcc_lo, s3, v1, vcc_lo
	s_delay_alu instid0(VALU_DEP_3)
	v_add_co_u32 v0, vcc_lo, v2, s8
	ds_store_2addr_b32 v238, v4, v5 offset0:52 offset1:142
	s_wait_alu 0xfffd
	v_add_co_ci_u32_e32 v1, vcc_lo, s9, v3, vcc_lo
	v_add_co_u32 v4, vcc_lo, v0, s2
	s_wait_alu 0xfffd
	s_delay_alu instid0(VALU_DEP_2) | instskip(NEXT) | instid1(VALU_DEP_2)
	v_add_co_ci_u32_e32 v5, vcc_lo, s3, v1, vcc_lo
	v_add_co_u32 v6, vcc_lo, v4, s2
	global_load_b32 v4, v[4:5], off
	s_wait_alu 0xfffd
	v_add_co_ci_u32_e32 v7, vcc_lo, s3, v5, vcc_lo
	s_wait_loadcnt 0x1
	v_lshrrev_b32_e32 v5, 16, v8
	v_mul_f16_e32 v9, v10, v8
	s_delay_alu instid0(VALU_DEP_1) | instskip(SKIP_1) | instid1(VALU_DEP_1)
	v_fma_f16 v9, v29, v5, -v9
	v_mul_f16_e32 v5, v10, v5
	v_fmac_f16_e32 v5, v29, v8
	s_wait_loadcnt 0x0
	v_lshrrev_b32_e32 v8, 16, v4
	v_mul_f16_e32 v10, v11, v4
	s_delay_alu instid0(VALU_DEP_1) | instskip(SKIP_1) | instid1(VALU_DEP_1)
	v_fma_f16 v10, v21, v8, -v10
	v_mul_f16_e32 v8, v11, v8
	v_fmac_f16_e32 v8, v21, v4
	v_pack_b32_f16 v4, v5, v9
	global_load_b32 v9, v158, s[4:5] offset:8640
	scratch_store_b32 off, v21, off offset:128 ; 4-byte Folded Spill
	v_pack_b32_f16 v5, v8, v10
	v_lshrrev_b32_e32 v8, 16, v26
	s_clause 0x4
	scratch_store_b32 off, v26, off offset:144
	scratch_store_b32 off, v14, off offset:176
	;; [unrolled: 1-line block ×5, first 2 shown]
	ds_store_2addr_b32 v241, v4, v5 offset0:146 offset1:236
	global_load_b32 v4, v[2:3], off
	global_load_b32 v5, v[6:7], off
	v_add_co_u32 v2, vcc_lo, v6, s8
	s_wait_alu 0xfffd
	v_add_co_ci_u32_e32 v3, vcc_lo, s9, v7, vcc_lo
	s_wait_loadcnt 0x2
	v_lshrrev_b32_e32 v10, 16, v9
	scratch_store_b32 off, v9, off offset:104 ; 4-byte Folded Spill
	s_clause 0x4
	global_load_b32 v23, v158, s[4:5] offset:9000
	global_load_b32 v16, v158, s[4:5] offset:9360
	global_load_b32 v15, v158, s[4:5] offset:9720
	global_load_b32 v12, v158, s[4:5] offset:10080
	global_load_b32 v11, v158, s[4:5] offset:10440
	s_clause 0x1
	scratch_store_b32 off, v20, off offset:112
	scratch_store_b32 off, v10, off offset:108
	s_wait_loadcnt 0x6
	v_lshrrev_b32_e32 v6, 16, v4
	v_mul_f16_e32 v7, v8, v4
	s_delay_alu instid0(VALU_DEP_1) | instskip(SKIP_3) | instid1(VALU_DEP_2)
	v_fma_f16 v7, v26, v6, -v7
	v_mul_f16_e32 v6, v8, v6
	s_wait_loadcnt 0x5
	v_mul_f16_e32 v8, v10, v5
	v_fmac_f16_e32 v6, v26, v4
	v_lshrrev_b32_e32 v4, 16, v5
	s_delay_alu instid0(VALU_DEP_1) | instskip(SKIP_2) | instid1(VALU_DEP_2)
	v_fma_f16 v8, v9, v4, -v8
	v_mul_f16_e32 v4, v10, v4
	v_lshrrev_b32_e32 v10, 16, v20
	v_fmac_f16_e32 v4, v9, v5
	v_pack_b32_f16 v5, v6, v7
	v_lshrrev_b32_e32 v6, 16, v25
	v_lshrrev_b32_e32 v7, 16, v24
	scratch_store_b32 off, v24, off offset:120 ; 4-byte Folded Spill
	v_pack_b32_f16 v4, v4, v8
	s_clause 0x1
	scratch_store_b32 off, v6, off offset:140
	scratch_store_b32 off, v7, off offset:124
	ds_store_2addr_b32 v251, v5, v4 offset0:22 offset1:112
	global_load_b32 v4, v[0:1], off
	v_add_co_u32 v0, vcc_lo, v2, s2
	global_load_b32 v2, v[2:3], off
	s_wait_alu 0xfffd
	v_add_co_ci_u32_e32 v1, vcc_lo, s3, v3, vcc_lo
	global_load_b32 v8, v[0:1], off
	s_wait_loadcnt 0x2
	v_lshrrev_b32_e32 v3, 16, v4
	v_mul_f16_e32 v5, v6, v4
	s_delay_alu instid0(VALU_DEP_1)
	v_fma_f16 v5, v25, v3, -v5
	v_mul_f16_e32 v3, v6, v3
	s_wait_loadcnt 0x1
	v_mul_f16_e32 v6, v7, v2
	s_wait_loadcnt 0x0
	v_mul_f16_e32 v9, v10, v8
	v_fmac_f16_e32 v3, v25, v4
	v_lshrrev_b32_e32 v4, 16, v2
	s_delay_alu instid0(VALU_DEP_1) | instskip(SKIP_1) | instid1(VALU_DEP_1)
	v_fma_f16 v6, v24, v4, -v6
	v_mul_f16_e32 v4, v7, v4
	v_fmac_f16_e32 v4, v24, v2
	v_pack_b32_f16 v2, v3, v5
	s_delay_alu instid0(VALU_DEP_2) | instskip(SKIP_4) | instid1(VALU_DEP_2)
	v_pack_b32_f16 v3, v4, v6
	ds_store_2addr_b32 v237, v2, v3 offset0:104 offset1:194
	v_add_co_u32 v2, vcc_lo, v0, s2
	s_wait_alu 0xfffd
	v_add_co_ci_u32_e32 v3, vcc_lo, s3, v1, vcc_lo
	v_add_co_u32 v0, vcc_lo, v2, s8
	s_wait_alu 0xfffd
	s_delay_alu instid0(VALU_DEP_2) | instskip(NEXT) | instid1(VALU_DEP_2)
	v_add_co_ci_u32_e32 v1, vcc_lo, s9, v3, vcc_lo
	v_add_co_u32 v4, vcc_lo, v0, s2
	s_wait_alu 0xfffd
	s_delay_alu instid0(VALU_DEP_2) | instskip(NEXT) | instid1(VALU_DEP_2)
	v_add_co_ci_u32_e32 v5, vcc_lo, s3, v1, vcc_lo
	v_add_co_u32 v6, vcc_lo, v4, s2
	s_wait_alu 0xfffd
	s_delay_alu instid0(VALU_DEP_2) | instskip(SKIP_2) | instid1(VALU_DEP_1)
	v_add_co_ci_u32_e32 v7, vcc_lo, s3, v5, vcc_lo
	global_load_b32 v4, v[4:5], off
	v_lshrrev_b32_e32 v5, 16, v8
	v_fma_f16 v9, v20, v5, -v9
	v_mul_f16_e32 v5, v10, v5
	s_delay_alu instid0(VALU_DEP_1)
	v_fmac_f16_e32 v5, v20, v8
	global_load_b32 v20, v158, s[4:5] offset:5760
	s_clause 0x1
	scratch_store_b32 off, v25, off offset:136
	scratch_store_b32 off, v10, off offset:116
	s_wait_loadcnt 0x1
	v_lshrrev_b32_e32 v8, 16, v4
	s_wait_loadcnt 0x0
	scratch_store_b32 off, v20, off offset:80 ; 4-byte Folded Spill
	v_lshrrev_b32_e32 v21, 16, v20
	s_clause 0x1
	global_load_b32 v14, v158, s[4:5] offset:6120
	global_load_b32 v13, v158, s[4:5] offset:6480
	scratch_store_b32 off, v19, off offset:72 ; 4-byte Folded Spill
	v_mul_f16_e32 v10, v21, v4
	s_delay_alu instid0(VALU_DEP_1) | instskip(SKIP_1) | instid1(VALU_DEP_1)
	v_fma_f16 v10, v20, v8, -v10
	v_mul_f16_e32 v8, v21, v8
	v_fmac_f16_e32 v8, v20, v4
	v_pack_b32_f16 v4, v5, v9
	v_lshrrev_b32_e32 v9, 16, v16
	s_delay_alu instid0(VALU_DEP_3)
	v_pack_b32_f16 v5, v8, v10
	v_lshrrev_b32_e32 v8, 16, v23
	ds_store_2addr_b32 v143, v4, v5 offset0:70 offset1:160
	global_load_b32 v4, v[2:3], off
	global_load_b32 v5, v[6:7], off
	v_add_co_u32 v2, vcc_lo, v6, s8
	s_wait_alu 0xfffd
	v_add_co_ci_u32_e32 v3, vcc_lo, s9, v7, vcc_lo
	scratch_store_b32 off, v8, off offset:100 ; 4-byte Folded Spill
	s_wait_loadcnt 0x3
	v_lshrrev_b32_e32 v10, 16, v14
	s_clause 0x1
	scratch_store_b32 off, v14, off offset:56
	scratch_store_b32 off, v10, off offset:60
	s_wait_loadcnt 0x1
	v_lshrrev_b32_e32 v6, 16, v4
	v_mul_f16_e32 v7, v8, v4
	s_delay_alu instid0(VALU_DEP_1) | instskip(SKIP_3) | instid1(VALU_DEP_2)
	v_fma_f16 v7, v23, v6, -v7
	v_mul_f16_e32 v6, v8, v6
	s_wait_loadcnt 0x0
	v_mul_f16_e32 v8, v9, v5
	v_fmac_f16_e32 v6, v23, v4
	v_lshrrev_b32_e32 v4, 16, v5
	s_delay_alu instid0(VALU_DEP_1) | instskip(SKIP_1) | instid1(VALU_DEP_1)
	v_fma_f16 v8, v16, v4, -v8
	v_mul_f16_e32 v4, v9, v4
	v_fmac_f16_e32 v4, v16, v5
	v_pack_b32_f16 v5, v6, v7
	v_add_nc_u32_e32 v6, 0x2200, v158
	v_lshrrev_b32_e32 v7, 16, v19
	scratch_store_b32 off, v9, off offset:68 ; 4-byte Folded Spill
	v_pack_b32_f16 v4, v4, v8
	s_clause 0x1
	scratch_store_b32 off, v21, off offset:84
	scratch_store_b32 off, v7, off offset:76
	ds_store_2addr_b32 v6, v5, v4 offset0:74 offset1:164
	global_load_b32 v4, v[0:1], off
	v_add_co_u32 v0, vcc_lo, v2, s2
	global_load_b32 v2, v[2:3], off
	v_lshrrev_b32_e32 v6, 16, v22
	scratch_store_b32 off, v22, off offset:88 ; 4-byte Folded Spill
	s_wait_alu 0xfffd
	v_add_co_ci_u32_e32 v1, vcc_lo, s3, v3, vcc_lo
	s_clause 0x1
	scratch_store_b32 off, v23, off offset:96
	scratch_store_b32 off, v6, off offset:92
	global_load_b32 v8, v[0:1], off
	s_wait_loadcnt 0x2
	v_lshrrev_b32_e32 v3, 16, v4
	v_mul_f16_e32 v5, v6, v4
	s_delay_alu instid0(VALU_DEP_1)
	v_fma_f16 v5, v22, v3, -v5
	v_mul_f16_e32 v3, v6, v3
	s_wait_loadcnt 0x1
	v_mul_f16_e32 v6, v7, v2
	s_wait_loadcnt 0x0
	v_mul_f16_e32 v9, v10, v8
	v_fmac_f16_e32 v3, v22, v4
	v_lshrrev_b32_e32 v4, 16, v2
	s_delay_alu instid0(VALU_DEP_1) | instskip(SKIP_1) | instid1(VALU_DEP_1)
	v_fma_f16 v6, v19, v4, -v6
	v_mul_f16_e32 v4, v7, v4
	v_fmac_f16_e32 v4, v19, v2
	v_pack_b32_f16 v2, v3, v5
	s_delay_alu instid0(VALU_DEP_2) | instskip(SKIP_4) | instid1(VALU_DEP_2)
	v_pack_b32_f16 v3, v4, v6
	ds_store_2addr_b32 v157, v2, v3 offset0:28 offset1:118
	v_add_co_u32 v2, vcc_lo, v0, s2
	s_wait_alu 0xfffd
	v_add_co_ci_u32_e32 v3, vcc_lo, s3, v1, vcc_lo
	v_add_co_u32 v0, vcc_lo, v2, s8
	s_wait_alu 0xfffd
	s_delay_alu instid0(VALU_DEP_2) | instskip(NEXT) | instid1(VALU_DEP_2)
	v_add_co_ci_u32_e32 v1, vcc_lo, s9, v3, vcc_lo
	v_add_co_u32 v4, vcc_lo, v0, s2
	s_wait_alu 0xfffd
	s_delay_alu instid0(VALU_DEP_2) | instskip(NEXT) | instid1(VALU_DEP_2)
	v_add_co_ci_u32_e32 v5, vcc_lo, s3, v1, vcc_lo
	v_add_co_u32 v6, vcc_lo, v4, s2
	global_load_b32 v4, v[4:5], off
	s_wait_alu 0xfffd
	v_add_co_ci_u32_e32 v7, vcc_lo, s3, v5, vcc_lo
	v_lshrrev_b32_e32 v5, 16, v8
	s_delay_alu instid0(VALU_DEP_1) | instskip(SKIP_1) | instid1(VALU_DEP_1)
	v_fma_f16 v9, v14, v5, -v9
	v_mul_f16_e32 v5, v10, v5
	v_fmac_f16_e32 v5, v14, v8
	v_lshrrev_b32_e32 v14, 16, v13
	scratch_store_b32 off, v14, off offset:36 ; 4-byte Folded Spill
	s_wait_loadcnt 0x0
	v_lshrrev_b32_e32 v8, 16, v4
	v_mul_f16_e32 v10, v14, v4
	s_delay_alu instid0(VALU_DEP_1) | instskip(SKIP_1) | instid1(VALU_DEP_1)
	v_fma_f16 v10, v13, v8, -v10
	v_mul_f16_e32 v8, v14, v8
	v_fmac_f16_e32 v8, v13, v4
	v_pack_b32_f16 v4, v5, v9
	v_lshrrev_b32_e32 v9, 16, v12
	s_clause 0x1
	scratch_store_b32 off, v12, off offset:24
	scratch_store_b32 off, v13, off offset:32
	v_pack_b32_f16 v5, v8, v10
	v_add_nc_u32_e32 v8, 0x1600, v158
	scratch_store_b32 off, v9, off offset:28 ; 4-byte Folded Spill
	ds_store_2addr_b32 v8, v4, v5 offset0:122 offset1:212
	global_load_b32 v4, v[2:3], off
	global_load_b32 v5, v[6:7], off
	v_lshrrev_b32_e32 v8, 16, v15
	v_add_co_u32 v2, vcc_lo, v6, s8
	s_wait_alu 0xfffd
	v_add_co_ci_u32_e32 v3, vcc_lo, s9, v7, vcc_lo
	s_clause 0x2
	scratch_store_b32 off, v15, off offset:48
	scratch_store_b32 off, v8, off offset:52
	;; [unrolled: 1-line block ×3, first 2 shown]
	s_wait_loadcnt 0x1
	v_lshrrev_b32_e32 v6, 16, v4
	v_mul_f16_e32 v7, v8, v4
	s_delay_alu instid0(VALU_DEP_1) | instskip(SKIP_3) | instid1(VALU_DEP_2)
	v_fma_f16 v7, v15, v6, -v7
	v_mul_f16_e32 v6, v8, v6
	s_wait_loadcnt 0x0
	v_mul_f16_e32 v8, v9, v5
	v_fmac_f16_e32 v6, v15, v4
	v_lshrrev_b32_e32 v4, 16, v5
	s_delay_alu instid0(VALU_DEP_1) | instskip(SKIP_1) | instid1(VALU_DEP_1)
	v_fma_f16 v8, v12, v4, -v8
	v_mul_f16_e32 v4, v9, v4
	v_fmac_f16_e32 v4, v12, v5
	v_pack_b32_f16 v5, v6, v7
	s_delay_alu instid0(VALU_DEP_2)
	v_pack_b32_f16 v4, v4, v8
	ds_store_2addr_b32 v96, v5, v4 offset0:126 offset1:216
	global_load_b32 v4, v[0:1], off
	v_add_co_u32 v0, vcc_lo, v2, s2
	global_load_b32 v2, v[2:3], off
	global_load_b32 v6, v158, s[4:5] offset:2880
	s_wait_alu 0xfffd
	v_add_co_ci_u32_e32 v1, vcc_lo, s3, v3, vcc_lo
	s_wait_loadcnt 0x2
	v_lshrrev_b32_e32 v3, 16, v4
	s_wait_loadcnt 0x0
	v_lshrrev_b32_e32 v7, 16, v6
	s_delay_alu instid0(VALU_DEP_1)
	v_mul_f16_e32 v5, v7, v4
	scratch_store_b32 off, v7, off offset:44 ; 4-byte Folded Spill
	v_fma_f16 v5, v6, v3, -v5
	v_mul_f16_e32 v3, v7, v3
	v_lshrrev_b32_e32 v7, 16, v18
	s_clause 0x1
	scratch_store_b32 off, v18, off offset:16
	scratch_store_b32 off, v6, off offset:40
	v_fmac_f16_e32 v3, v6, v4
	scratch_store_b32 off, v7, off offset:20 ; 4-byte Folded Spill
	v_lshrrev_b32_e32 v4, 16, v2
	v_mul_f16_e32 v6, v7, v2
	s_delay_alu instid0(VALU_DEP_1) | instskip(SKIP_1) | instid1(VALU_DEP_1)
	v_fma_f16 v6, v18, v4, -v6
	v_mul_f16_e32 v4, v7, v4
	v_fmac_f16_e32 v4, v18, v2
	v_pack_b32_f16 v2, v3, v5
	v_lshrrev_b32_e32 v5, 16, v11
	s_delay_alu instid0(VALU_DEP_3)
	v_pack_b32_f16 v3, v4, v6
	v_lshrrev_b32_e32 v4, 16, v17
	ds_store_2addr_b32 v165, v2, v3 offset0:80 offset1:170
	v_add_co_u32 v2, vcc_lo, v0, s2
	s_wait_alu 0xfffd
	v_add_co_ci_u32_e32 v3, vcc_lo, s3, v1, vcc_lo
	global_load_b32 v0, v[0:1], off
	global_load_b32 v1, v[2:3], off
	s_clause 0x3
	scratch_store_b32 off, v4, off offset:12
	scratch_store_b32 off, v11, off
	scratch_store_b32 off, v5, off offset:4
	scratch_store_b32 off, v17, off offset:8
	v_add_co_u32 v100, s2, 0x10e, v120
	s_wait_alu 0xf1ff
	v_add_co_ci_u32_e64 v56, null, 0, 0, s2
	v_cmp_gt_u16_e32 vcc_lo, 30, v91
	s_wait_loadcnt 0x1
	v_lshrrev_b32_e32 v2, 16, v0
	v_mul_f16_e32 v3, v4, v0
	s_delay_alu instid0(VALU_DEP_1) | instskip(SKIP_3) | instid1(VALU_DEP_2)
	v_fma_f16 v3, v17, v2, -v3
	v_mul_f16_e32 v2, v4, v2
	s_wait_loadcnt 0x0
	v_mul_f16_e32 v4, v5, v1
	v_fmac_f16_e32 v2, v17, v0
	v_lshrrev_b32_e32 v0, 16, v1
	s_delay_alu instid0(VALU_DEP_1) | instskip(SKIP_1) | instid1(VALU_DEP_1)
	v_fma_f16 v4, v11, v0, -v4
	v_mul_f16_e32 v0, v5, v0
	v_fmac_f16_e32 v0, v11, v1
	v_pack_b32_f16 v1, v2, v3
	s_delay_alu instid0(VALU_DEP_2)
	v_pack_b32_f16 v0, v0, v4
	ds_store_b32 v158, v1 offset:6840
	ds_store_b32 v158, v0 offset:10440
	s_load_b128 s[8:11], s[10:11], 0x0
	global_wb scope:SCOPE_SE
	s_wait_storecnt_dscnt 0x0
	s_wait_kmcnt 0x0
	s_barrier_signal -1
	s_barrier_wait -1
	global_inv scope:SCOPE_SE
	ds_load_2addr_b32 v[0:1], v250 offset0:132 offset1:222
	ds_load_2addr_b32 v[2:3], v163 offset0:8 offset1:98
	ds_load_2addr_b32 v[4:5], v158 offset1:90
	s_mul_u64 s[14:15], s[8:9], 0xe10
	s_wait_dscnt 0x2
	v_lshrrev_b32_e32 v8, 16, v1
	s_wait_dscnt 0x1
	v_add_f16_e32 v6, v1, v3
	v_lshrrev_b32_e32 v18, 16, v3
	s_wait_dscnt 0x0
	v_add_f16_e32 v7, v5, v1
	v_lshrrev_b32_e32 v12, 16, v5
	v_sub_f16_e32 v1, v1, v3
	v_fmac_f16_e32 v5, -0.5, v6
	v_add_f16_e32 v6, v8, v18
	v_add_f16_e32 v10, v4, v0
	;; [unrolled: 1-line block ×4, first 2 shown]
	v_lshrrev_b32_e32 v11, 16, v0
	v_fmac_f16_e32 v12, -0.5, v6
	v_sub_f16_e32 v6, v8, v18
	v_sub_f16_e32 v0, v0, v2
	v_add_f16_e32 v28, v7, v3
	v_fma_f16 v3, -0.5, v9, v4
	v_fmamk_f16 v27, v1, 0xbaee, v12
	v_fmamk_f16 v26, v6, 0x3aee, v5
	v_fmac_f16_e32 v5, 0xbaee, v6
	v_fmac_f16_e32 v12, 0x3aee, v1
	v_add_f16_e32 v1, v10, v2
	v_lshrrev_b32_e32 v2, 16, v2
	v_lshrrev_b32_e32 v4, 16, v4
	v_add_f16_e32 v18, v25, v18
	v_pack_b32_f16 v29, v5, v12
	v_pack_b32_f16 v25, v26, v27
	v_add_f16_e32 v5, v11, v2
	v_add_f16_e32 v6, v4, v11
	v_mul_u32_u24_e32 v26, 3, v71
	v_pack_b32_f16 v18, v28, v18
	s_delay_alu instid0(VALU_DEP_4) | instskip(SKIP_3) | instid1(VALU_DEP_3)
	v_fmac_f16_e32 v4, -0.5, v5
	v_sub_f16_e32 v5, v11, v2
	v_add_f16_e32 v2, v6, v2
	v_lshlrev_b32_e32 v26, 2, v26
	v_fmamk_f16 v6, v5, 0x3aee, v3
	v_fmac_f16_e32 v3, 0xbaee, v5
	v_fmamk_f16 v5, v0, 0xbaee, v4
	v_fmac_f16_e32 v4, 0x3aee, v0
	v_mul_lo_u16 v0, v91, 3
	v_dual_mov_b32 v35, v26 :: v_dual_add_nc_u32 v98, 0x1e00, v158
	v_add_nc_u32_e32 v97, 0x1200, v158
	v_pack_b32_f16 v30, v1, v2
	s_delay_alu instid0(VALU_DEP_4)
	v_and_b32_e32 v0, 0xffff, v0
	v_pack_b32_f16 v31, v6, v5
	v_pack_b32_f16 v32, v3, v4
	v_add_nc_u32_e32 v92, 0x1800, v158
	v_add_nc_u32_e32 v93, 0x2600, v158
	v_lshlrev_b32_e32 v34, 2, v0
	scratch_store_b32 off, v34, off offset:248 ; 4-byte Folded Spill
	ds_load_2addr_b32 v[19:20], v238 offset0:52 offset1:142
	ds_load_2addr_b32 v[21:22], v241 offset0:56 offset1:146
	;; [unrolled: 1-line block ×12, first 2 shown]
	global_wb scope:SCOPE_SE
	s_wait_storecnt_dscnt 0x0
	s_barrier_signal -1
	s_barrier_wait -1
	global_inv scope:SCOPE_SE
	ds_store_2addr_b32 v34, v30, v31 offset1:1
	ds_store_b32 v34, v32 offset:8
	ds_store_2addr_b32 v26, v18, v25 offset1:1
	ds_store_b32 v35, v29 offset:8
	v_lshrrev_b32_e32 v31, 16, v20
	v_lshrrev_b32_e32 v26, 16, v22
	v_add_f16_e32 v18, v22, v24
	v_lshrrev_b32_e32 v32, 16, v24
	v_add_f16_e32 v25, v20, v22
	v_sub_f16_e32 v22, v22, v24
	v_add_f16_e32 v28, v19, v21
	v_fmac_f16_e32 v20, -0.5, v18
	v_add_f16_e32 v18, v26, v32
	v_add_f16_e32 v33, v31, v26
	;; [unrolled: 1-line block ×3, first 2 shown]
	v_lshrrev_b32_e32 v30, 16, v21
	v_sub_f16_e32 v21, v21, v23
	v_fmac_f16_e32 v31, -0.5, v18
	v_sub_f16_e32 v18, v26, v32
	v_add_f16_e32 v24, v25, v24
	v_fma_f16 v25, -0.5, v27, v19
	v_lshrrev_b32_e32 v19, 16, v19
	v_fmamk_f16 v34, v22, 0xbaee, v31
	v_fmamk_f16 v26, v18, 0x3aee, v20
	v_fmac_f16_e32 v20, 0xbaee, v18
	v_fmac_f16_e32 v31, 0x3aee, v22
	v_add_f16_e32 v22, v28, v23
	v_lshrrev_b32_e32 v23, 16, v23
	v_add_f16_e32 v27, v19, v30
	s_delay_alu instid0(VALU_DEP_4) | instskip(NEXT) | instid1(VALU_DEP_3)
	v_pack_b32_f16 v18, v20, v31
	v_add_f16_e32 v20, v30, v23
	s_delay_alu instid0(VALU_DEP_1) | instskip(SKIP_2) | instid1(VALU_DEP_2)
	v_fmac_f16_e32 v19, -0.5, v20
	v_sub_f16_e32 v20, v30, v23
	v_add_f16_e32 v23, v27, v23
	v_fmamk_f16 v27, v20, 0x3aee, v25
	v_fmac_f16_e32 v25, 0xbaee, v20
	v_fmamk_f16 v20, v21, 0xbaee, v19
	v_fmac_f16_e32 v19, 0x3aee, v21
	v_pack_b32_f16 v21, v22, v23
	s_delay_alu instid0(VALU_DEP_3) | instskip(NEXT) | instid1(VALU_DEP_3)
	v_pack_b32_f16 v20, v27, v20
	v_pack_b32_f16 v22, v25, v19
	v_mul_u32_u24_e32 v19, 3, v72
	v_lshrrev_b32_e32 v25, 16, v13
	s_delay_alu instid0(VALU_DEP_2)
	v_lshlrev_b32_e32 v23, 2, v19
	v_add_f16_e32 v19, v33, v32
	s_clause 0x1
	scratch_store_b32 off, v35, off offset:256
	scratch_store_b32 off, v23, off offset:252
	ds_store_2addr_b32 v23, v21, v20 offset1:1
	ds_store_b32 v23, v22 offset:8
	v_mul_u32_u24_e32 v21, 3, v100
	v_pack_b32_f16 v19, v24, v19
	v_pack_b32_f16 v20, v26, v34
	v_add_f16_e32 v22, v16, v14
	v_add_f16_e32 v23, v12, v16
	v_lshlrev_b32_e32 v168, 2, v21
	v_lshrrev_b32_e32 v21, 16, v17
	v_lshrrev_b32_e32 v24, 16, v16
	v_sub_f16_e32 v16, v16, v14
	ds_store_2addr_b32 v168, v19, v20 offset1:1
	ds_store_b32 v168, v18 offset:8
	v_add_f16_e32 v19, v17, v15
	v_add_f16_e32 v20, v13, v17
	v_sub_f16_e32 v17, v17, v15
	v_add_f16_e32 v27, v25, v21
	s_delay_alu instid0(VALU_DEP_4) | instskip(SKIP_4) | instid1(VALU_DEP_4)
	v_fmac_f16_e32 v13, -0.5, v19
	v_lshrrev_b32_e32 v19, 16, v15
	v_add_f16_e32 v15, v20, v15
	v_fma_f16 v20, -0.5, v22, v12
	v_lshrrev_b32_e32 v12, 16, v12
	v_add_f16_e32 v26, v21, v19
	v_sub_f16_e32 v21, v21, v19
	s_delay_alu instid0(VALU_DEP_2) | instskip(NEXT) | instid1(VALU_DEP_2)
	v_fmac_f16_e32 v25, -0.5, v26
	v_fmamk_f16 v26, v21, 0x3aee, v13
	v_fmac_f16_e32 v13, 0xbaee, v21
	s_delay_alu instid0(VALU_DEP_3) | instskip(SKIP_4) | instid1(VALU_DEP_4)
	v_fmamk_f16 v21, v17, 0xbaee, v25
	v_fmac_f16_e32 v25, 0x3aee, v17
	v_add_f16_e32 v17, v23, v14
	v_lshrrev_b32_e32 v14, 16, v14
	v_add_f16_e32 v23, v12, v24
	v_pack_b32_f16 v13, v13, v25
	s_delay_alu instid0(VALU_DEP_3) | instskip(NEXT) | instid1(VALU_DEP_1)
	v_add_f16_e32 v22, v24, v14
	v_fmac_f16_e32 v12, -0.5, v22
	v_sub_f16_e32 v22, v24, v14
	v_add_f16_e32 v14, v23, v14
	s_delay_alu instid0(VALU_DEP_2)
	v_fmamk_f16 v23, v22, 0x3aee, v20
	v_fmac_f16_e32 v20, 0xbaee, v22
	v_fmamk_f16 v22, v16, 0xbaee, v12
	v_fmac_f16_e32 v12, 0x3aee, v16
	v_pack_b32_f16 v14, v17, v14
	v_mul_u32_u24_e32 v17, 3, v230
	s_delay_alu instid0(VALU_DEP_4) | instskip(NEXT) | instid1(VALU_DEP_4)
	v_pack_b32_f16 v16, v23, v22
	v_pack_b32_f16 v12, v20, v12
	v_add_f16_e32 v20, v6, v10
	s_delay_alu instid0(VALU_DEP_4)
	v_lshlrev_b32_e32 v145, 2, v17
	ds_store_2addr_b32 v145, v14, v16 offset1:1
	ds_store_b32 v145, v12 offset:8
	v_add_f16_e32 v14, v27, v19
	v_mul_u32_u24_e32 v12, 3, v213
	v_pack_b32_f16 v16, v26, v21
	v_add_f16_e32 v19, v10, v8
	s_delay_alu instid0(VALU_DEP_4) | instskip(NEXT) | instid1(VALU_DEP_4)
	v_pack_b32_f16 v14, v15, v14
	v_lshlrev_b32_e32 v180, 2, v12
	v_add_f16_e32 v12, v11, v9
	v_add_f16_e32 v15, v7, v11
	ds_store_2addr_b32 v180, v14, v16 offset1:1
	ds_store_b32 v180, v13 offset:8
	v_lshrrev_b32_e32 v14, 16, v7
	v_fmac_f16_e32 v7, -0.5, v12
	v_lshrrev_b32_e32 v12, 16, v11
	v_lshrrev_b32_e32 v16, 16, v9
	v_sub_f16_e32 v11, v11, v9
	v_add_f16_e32 v9, v15, v9
	v_fma_f16 v15, -0.5, v19, v6
	v_add_f16_e32 v18, v14, v12
	v_add_f16_e32 v17, v12, v16
	v_sub_f16_e32 v12, v12, v16
	v_lshrrev_b32_e32 v6, 16, v6
	v_add_f16_e32 v13, v4, v2
	s_delay_alu instid0(VALU_DEP_4)
	v_fmac_f16_e32 v14, -0.5, v17
	v_lshrrev_b32_e32 v17, 16, v10
	v_sub_f16_e32 v10, v10, v8
	v_fmamk_f16 v21, v12, 0x3aee, v7
	v_fmac_f16_e32 v7, 0xbaee, v12
	v_fmamk_f16 v12, v11, 0xbaee, v14
	v_fmac_f16_e32 v14, 0x3aee, v11
	v_add_f16_e32 v11, v20, v8
	v_lshrrev_b32_e32 v8, 16, v8
	v_add_f16_e32 v19, v6, v17
	s_delay_alu instid0(VALU_DEP_4) | instskip(NEXT) | instid1(VALU_DEP_3)
	v_pack_b32_f16 v7, v7, v14
	v_add_f16_e32 v14, v17, v8
	s_delay_alu instid0(VALU_DEP_1) | instskip(SKIP_2) | instid1(VALU_DEP_2)
	v_fmac_f16_e32 v6, -0.5, v14
	v_sub_f16_e32 v14, v17, v8
	v_add_f16_e32 v8, v19, v8
	v_fmamk_f16 v17, v14, 0x3aee, v15
	v_fmac_f16_e32 v15, 0xbaee, v14
	v_fmamk_f16 v14, v10, 0xbaee, v6
	v_fmac_f16_e32 v6, 0x3aee, v10
	v_pack_b32_f16 v8, v11, v8
	v_mul_u32_u24_e32 v11, 3, v229
	s_delay_alu instid0(VALU_DEP_4) | instskip(NEXT) | instid1(VALU_DEP_4)
	v_pack_b32_f16 v10, v17, v14
	v_pack_b32_f16 v6, v15, v6
	v_add_f16_e32 v14, v0, v4
	s_delay_alu instid0(VALU_DEP_4)
	v_lshlrev_b32_e32 v140, 2, v11
	ds_store_2addr_b32 v140, v8, v10 offset1:1
	ds_store_b32 v140, v6 offset:8
	v_add_f16_e32 v8, v18, v16
	v_mul_u32_u24_e32 v6, 3, v212
	v_pack_b32_f16 v10, v21, v12
	s_delay_alu instid0(VALU_DEP_3) | instskip(NEXT) | instid1(VALU_DEP_3)
	v_pack_b32_f16 v8, v9, v8
	v_lshlrev_b32_e32 v141, 2, v6
	v_add_f16_e32 v6, v5, v3
	v_add_f16_e32 v9, v1, v5
	ds_store_2addr_b32 v141, v8, v10 offset1:1
	ds_store_b32 v141, v7 offset:8
	v_lshrrev_b32_e32 v8, 16, v1
	v_fmac_f16_e32 v1, -0.5, v6
	v_lshrrev_b32_e32 v6, 16, v5
	v_lshrrev_b32_e32 v10, 16, v3
	v_sub_f16_e32 v5, v5, v3
	v_add_f16_e32 v3, v9, v3
	v_fma_f16 v9, -0.5, v13, v0
	v_add_f16_e32 v12, v8, v6
	v_add_f16_e32 v11, v6, v10
	v_sub_f16_e32 v6, v6, v10
	v_lshrrev_b32_e32 v0, 16, v0
	s_delay_alu instid0(VALU_DEP_3)
	v_fmac_f16_e32 v8, -0.5, v11
	v_lshrrev_b32_e32 v11, 16, v4
	v_sub_f16_e32 v4, v4, v2
	v_fmamk_f16 v15, v6, 0x3aee, v1
	v_fmac_f16_e32 v1, 0xbaee, v6
	v_fmamk_f16 v6, v5, 0xbaee, v8
	v_fmac_f16_e32 v8, 0x3aee, v5
	v_add_f16_e32 v5, v14, v2
	v_lshrrev_b32_e32 v2, 16, v2
	v_add_f16_e32 v13, v0, v11
	s_delay_alu instid0(VALU_DEP_4) | instskip(NEXT) | instid1(VALU_DEP_3)
	v_pack_b32_f16 v1, v1, v8
	v_add_f16_e32 v8, v11, v2
	s_delay_alu instid0(VALU_DEP_1) | instskip(SKIP_2) | instid1(VALU_DEP_2)
	v_fmac_f16_e32 v0, -0.5, v8
	v_sub_f16_e32 v8, v11, v2
	v_add_f16_e32 v2, v13, v2
	v_fmamk_f16 v11, v8, 0x3aee, v9
	v_fmac_f16_e32 v9, 0xbaee, v8
	v_fmamk_f16 v8, v4, 0xbaee, v0
	v_fmac_f16_e32 v0, 0x3aee, v4
	v_pack_b32_f16 v2, v5, v2
	v_mul_u32_u24_e32 v5, 3, v85
	s_delay_alu instid0(VALU_DEP_4) | instskip(NEXT) | instid1(VALU_DEP_4)
	v_pack_b32_f16 v4, v11, v8
	v_pack_b32_f16 v0, v9, v0
	s_delay_alu instid0(VALU_DEP_3)
	v_lshlrev_b32_e32 v101, 2, v5
	ds_store_2addr_b32 v101, v2, v4 offset1:1
	ds_store_b32 v101, v0 offset:8
	v_add_f16_e32 v2, v12, v10
	v_mul_u32_u24_e32 v0, 3, v90
	v_pack_b32_f16 v4, v15, v6
	s_delay_alu instid0(VALU_DEP_3) | instskip(NEXT) | instid1(VALU_DEP_3)
	v_pack_b32_f16 v2, v3, v2
	v_lshlrev_b32_e32 v132, 2, v0
	v_and_b32_e32 v0, 0xffff, v72
	ds_store_2addr_b32 v132, v2, v4 offset1:1
	ds_store_b32 v132, v1 offset:8
	v_mul_u32_u24_e32 v1, 0xaaab, v0
	global_wb scope:SCOPE_SE
	s_wait_storecnt_dscnt 0x0
	s_barrier_signal -1
	s_barrier_wait -1
	global_inv scope:SCOPE_SE
	v_lshrrev_b32_e32 v5, 17, v1
	v_mul_u32_u24_e32 v0, 0x8889, v0
	s_delay_alu instid0(VALU_DEP_2) | instskip(NEXT) | instid1(VALU_DEP_2)
	v_mul_lo_u16 v1, v5, 3
	v_lshrrev_b32_e32 v55, 20, v0
	s_delay_alu instid0(VALU_DEP_2) | instskip(NEXT) | instid1(VALU_DEP_2)
	v_sub_nc_u16 v6, v72, v1
	v_mul_lo_u16 v0, v55, 30
	s_delay_alu instid0(VALU_DEP_2) | instskip(SKIP_1) | instid1(VALU_DEP_2)
	v_mul_lo_u16 v1, v6, 36
	v_mad_u16 v5, v5, 30, v6
	v_and_b32_e32 v1, 0xffff, v1
	s_delay_alu instid0(VALU_DEP_2) | instskip(NEXT) | instid1(VALU_DEP_2)
	v_and_b32_e32 v5, 0xffff, v5
	v_add_co_u32 v1, s2, s6, v1
	s_wait_alu 0xf1ff
	v_add_co_ci_u32_e64 v2, null, s7, 0, s2
	s_clause 0x2
	global_load_b32 v182, v[1:2], off offset:32
	global_load_b128 v[110:113], v[1:2], off
	global_load_b128 v[147:150], v[1:2], off offset:16
	ds_load_2addr_b32 v[11:12], v165 offset0:80 offset1:170
	ds_load_2addr_b32 v[35:36], v97 offset0:108 offset1:198
	;; [unrolled: 1-line block ×10, first 2 shown]
	s_wait_dscnt 0x9
	v_lshrrev_b32_e32 v1, 16, v11
	s_wait_dscnt 0x8
	v_lshrrev_b32_e32 v2, 16, v35
	;; [unrolled: 2-line block ×7, first 2 shown]
	v_lshrrev_b32_e32 v88, 16, v36
	v_lshrrev_b32_e32 v95, 16, v38
	s_wait_dscnt 0x0
	v_lshrrev_b32_e32 v16, 16, v124
	v_lshrrev_b32_e32 v108, 16, v74
	;; [unrolled: 1-line block ×6, first 2 shown]
	s_wait_loadcnt 0x2
	v_lshrrev_b32_e32 v17, 16, v182
	s_wait_loadcnt 0x1
	v_lshrrev_b32_e32 v166, 16, v111
	v_lshrrev_b32_e32 v167, 16, v113
	s_wait_loadcnt 0x0
	v_lshrrev_b32_e32 v244, 16, v148
	v_lshrrev_b32_e32 v248, 16, v150
	;; [unrolled: 1-line block ×3, first 2 shown]
	v_mul_f16_e64 v3, v11, v166
	v_mul_f16_e64 v4, v35, v167
	;; [unrolled: 1-line block ×4, first 2 shown]
	v_lshrrev_b32_e32 v209, 16, v149
	v_fmac_f16_e32 v3, v1, v111
	v_mul_f16_e64 v1, v1, v166
	v_fmac_f16_e32 v4, v2, v113
	v_mul_f16_e64 v2, v2, v167
	v_fmac_f16_e64 v7, v8, v148
	v_mul_f16_e64 v8, v8, v244
	v_fmac_f16_e64 v9, v10, v150
	v_mul_f16_e64 v10, v10, v248
	v_fma_f16 v22, v35, v113, -v2
	v_fma_f16 v52, v11, v111, -v1
	;; [unrolled: 1-line block ×3, first 2 shown]
	v_lshrrev_b32_e32 v2, 16, v39
	v_fma_f16 v54, v73, v150, -v10
	v_lshrrev_b32_e32 v161, 16, v110
	v_add_f16_e32 v61, v39, v52
	v_add_f16_e32 v1, v22, v23
	v_lshrrev_b32_e32 v146, 16, v112
	v_add_f16_e32 v8, v52, v54
	v_sub_f16_e32 v10, v23, v54
	v_mul_f16_e64 v62, v84, v186
	v_fma_f16 v1, -0.5, v1, v39
	v_mul_f16_e64 v63, v87, v209
	v_fmac_f16_e32 v39, -0.5, v8
	v_sub_f16_e32 v8, v22, v52
	v_lshrrev_b32_e32 v11, 16, v82
	v_mul_f16_e64 v60, v82, v146
	v_fmac_f16_e64 v62, v14, v147
	v_mul_f16_e64 v14, v14, v186
	v_add_f16_e32 v13, v8, v10
	v_lshrrev_b32_e32 v8, 16, v76
	v_mul_f16_e64 v10, v76, v161
	v_fmac_f16_e64 v63, v15, v149
	v_mul_f16_e64 v15, v15, v209
	v_fmac_f16_e32 v60, v11, v112
	v_mul_f16_e64 v11, v11, v146
	v_fmac_f16_e32 v10, v8, v110
	v_mul_f16_e64 v8, v8, v161
	v_mul_f16_e32 v65, v124, v17
	v_mul_f16_e32 v17, v16, v17
	v_fma_f16 v67, v84, v147, -v14
	v_fma_f16 v66, v87, v149, -v15
	;; [unrolled: 1-line block ×3, first 2 shown]
	v_fmac_f16_e64 v65, v16, v182
	v_fma_f16 v16, v76, v110, -v8
	v_fma_f16 v68, v124, v182, -v17
	v_add_f16_e32 v8, v67, v66
	v_add_f16_e32 v73, v10, v60
	v_sub_f16_e32 v15, v63, v65
	v_add_f16_e32 v70, v16, v69
	v_sub_f16_e32 v14, v66, v68
	v_fma_f16 v11, -0.5, v8, v16
	v_add_f16_e32 v8, v69, v68
	v_lshrrev_b32_e32 v82, 16, v12
	v_sub_f16_e32 v19, v62, v63
	v_sub_f16_e32 v21, v67, v66
	;; [unrolled: 1-line block ×3, first 2 shown]
	v_fmac_f16_e32 v16, -0.5, v8
	v_sub_f16_e32 v8, v67, v69
	v_sub_f16_e32 v17, v4, v7
	;; [unrolled: 1-line block ×4, first 2 shown]
	v_fmamk_f16 v58, v19, 0xbb9c, v16
	v_add_f16_e32 v20, v8, v14
	v_add_f16_e32 v8, v62, v63
	v_fmac_f16_e32 v16, 0x3b9c, v19
	v_add_f16_e32 v61, v61, v22
	v_add_f16_e32 v6, v2, v3
	v_fmac_f16_e32 v58, 0x38b4, v57
	v_fma_f16 v14, -0.5, v8, v10
	v_add_f16_e32 v8, v60, v65
	v_fmac_f16_e32 v16, 0xb8b4, v57
	v_add_f16_e32 v61, v61, v23
	v_add_f16_e32 v6, v6, v4
	v_fmac_f16_e32 v58, 0x34f2, v20
	v_fmac_f16_e32 v10, -0.5, v8
	v_sub_f16_e32 v8, v62, v60
	v_fmac_f16_e32 v16, 0x34f2, v20
	v_add_f16_e32 v61, v61, v54
	v_sub_f16_e32 v60, v60, v62
	v_fmamk_f16 v59, v21, 0x3b9c, v10
	v_add_f16_e32 v51, v8, v15
	v_and_b32_e32 v8, 0xff, v91
	v_fmac_f16_e32 v10, 0xbb9c, v21
	v_add_f16_e32 v6, v6, v7
	v_fmac_f16_e32 v59, 0xb8b4, v53
	s_delay_alu instid0(VALU_DEP_4) | instskip(NEXT) | instid1(VALU_DEP_4)
	v_mul_lo_u16 v15, 0xab, v8
	v_fmac_f16_e32 v10, 0x38b4, v53
	s_delay_alu instid0(VALU_DEP_4) | instskip(NEXT) | instid1(VALU_DEP_4)
	v_add_f16_e32 v6, v6, v9
	v_fmac_f16_e32 v59, 0x34f2, v51
	s_delay_alu instid0(VALU_DEP_4) | instskip(NEXT) | instid1(VALU_DEP_4)
	v_lshrrev_b16 v76, 9, v15
	v_fmac_f16_e32 v10, 0x34f2, v51
	s_delay_alu instid0(VALU_DEP_2) | instskip(SKIP_1) | instid1(VALU_DEP_2)
	v_mul_lo_u16 v15, v76, 3
	v_and_b32_e32 v76, 0xffff, v76
	v_sub_nc_u16 v18, v91, v15
	v_fmamk_f16 v15, v17, 0xbb9c, v39
	v_fmac_f16_e32 v39, 0x3b9c, v17
	s_delay_alu instid0(VALU_DEP_4) | instskip(NEXT) | instid1(VALU_DEP_4)
	v_mul_u32_u24_e32 v76, 30, v76
	v_and_b32_e32 v77, 0xff, v18
	v_mul_f16_e32 v18, 0xb4f2, v16
	s_delay_alu instid0(VALU_DEP_4) | instskip(SKIP_1) | instid1(VALU_DEP_4)
	v_fmac_f16_e32 v39, 0xb8b4, v50
	v_fmac_f16_e32 v15, 0x38b4, v50
	v_mad_co_u64_u32 v[41:42], null, v77, 36, s[6:7]
	s_clause 0x2
	global_load_b128 v[44:47], v[41:42], off
	global_load_b128 v[32:35], v[41:42], off offset:16
	global_load_b32 v160, v[41:42], off offset:32
	v_fmac_f16_e32 v39, 0x34f2, v13
	v_fmac_f16_e32 v18, 0x3b9c, v10
	v_add_lshl_u32 v232, v76, v77, 2
	v_fmac_f16_e32 v15, 0x34f2, v13
	s_delay_alu instid0(VALU_DEP_3)
	v_add_f16_e32 v64, v39, v18
	v_sub_f16_e32 v18, v39, v18
	s_wait_loadcnt 0x2
	v_lshrrev_b32_e32 v105, 16, v44
	v_lshrrev_b32_e32 v118, 16, v46
	s_wait_loadcnt 0x1
	v_lshrrev_b32_e32 v144, 16, v32
	v_lshrrev_b32_e32 v159, 16, v34
	s_wait_loadcnt 0x0
	v_lshrrev_b32_e32 v164, 16, v160
	v_mul_f16_e32 v37, v78, v105
	v_mul_f16_e32 v87, v12, v118
	v_mul_f16_e64 v94, v36, v144
	v_mul_f16_e32 v80, v40, v105
	v_mul_f16_e64 v104, v38, v159
	v_fma_f16 v79, v40, v44, -v37
	v_mul_f16_e32 v37, v82, v118
	v_lshrrev_b32_e32 v121, 16, v45
	v_mul_f16_e64 v115, v74, v164
	v_lshrrev_b32_e32 v122, 16, v47
	v_lshrrev_b32_e32 v131, 16, v33
	v_fma_f16 v84, v12, v46, -v37
	v_mul_f16_e64 v12, v88, v144
	v_fmac_f16_e32 v80, v78, v44
	v_fmac_f16_e32 v87, v82, v46
	v_fmac_f16_e64 v115, v108, v160
	v_fmac_f16_e32 v94, v88, v32
	v_fma_f16 v89, v36, v32, -v12
	v_mul_f16_e64 v12, v95, v159
	v_fmac_f16_e32 v104, v95, v34
	v_sub_f16_e64 v218, v87, v115
	v_add_f16_e32 v77, v79, v84
	s_delay_alu instid0(VALU_DEP_4)
	v_fma_f16 v103, v38, v34, -v12
	v_and_b32_e32 v12, 0xff, v71
	v_mul_f16_e64 v38, v108, v164
	v_sub_f16_e64 v211, v115, v104
	v_add_f16_e64 v214, v94, v104
	v_sub_f16_e64 v217, v89, v103
	v_mul_lo_u16 v36, 0xab, v12
	v_fma_f16 v114, v74, v160, -v38
	v_sub_f16_e64 v220, v94, v104
	v_fma_f16 v214, -0.5, v214, v80
	v_add_f16_e32 v77, v77, v89
	v_lshrrev_b16 v106, 9, v36
	v_sub_f16_e64 v210, v114, v103
	v_sub_f16_e64 v215, v84, v114
	s_delay_alu instid0(VALU_DEP_4) | instskip(NEXT) | instid1(VALU_DEP_4)
	v_add_f16_e32 v77, v77, v103
	v_mul_lo_u16 v36, v106, 3
	s_delay_alu instid0(VALU_DEP_3) | instskip(SKIP_1) | instid1(VALU_DEP_4)
	v_fma_f16 v216, 0xbb9c, v215, v214
	v_fmac_f16_e64 v214, 0x3b9c, v215
	v_add_f16_e32 v77, v77, v114
	s_delay_alu instid0(VALU_DEP_4) | instskip(NEXT) | instid1(VALU_DEP_4)
	v_sub_nc_u16 v36, v71, v36
	v_fmac_f16_e64 v216, 0xb8b4, v217
	s_delay_alu instid0(VALU_DEP_4) | instskip(NEXT) | instid1(VALU_DEP_3)
	v_fmac_f16_e64 v214, 0x38b4, v217
	v_and_b32_e32 v107, 0xff, v36
	s_delay_alu instid0(VALU_DEP_1)
	v_mad_co_u64_u32 v[36:37], null, v107, 36, s[6:7]
	global_load_b128 v[40:43], v[36:37], off
	s_wait_loadcnt 0x0
	v_lshrrev_b32_e32 v129, 16, v40
	v_lshrrev_b32_e32 v119, 16, v41
	;; [unrolled: 1-line block ×4, first 2 shown]
	s_delay_alu instid0(VALU_DEP_4) | instskip(SKIP_1) | instid1(VALU_DEP_2)
	v_mul_f16_e64 v38, v109, v129
	v_mul_f16_e64 v124, v75, v129
	v_fma_f16 v116, v75, v40, -v38
	ds_load_2addr_b32 v[38:39], v157 offset0:28 offset1:118
	v_fmac_f16_e32 v124, v109, v40
	v_lshrrev_b32_e32 v109, 16, v35
	s_wait_dscnt 0x0
	v_lshrrev_b32_e32 v125, 16, v38
	v_lshrrev_b32_e32 v127, 16, v39
	v_mul_f16_e64 v133, v38, v121
	v_mul_f16_e64 v134, v39, v119
	s_delay_alu instid0(VALU_DEP_4) | instskip(NEXT) | instid1(VALU_DEP_3)
	v_mul_f16_e32 v74, v125, v121
	v_fmac_f16_e64 v133, v125, v45
	s_delay_alu instid0(VALU_DEP_3) | instskip(NEXT) | instid1(VALU_DEP_3)
	v_fmac_f16_e64 v134, v127, v41
	v_fma_f16 v126, v38, v45, -v74
	v_mul_f16_e32 v74, v127, v119
	v_mul_f16_e64 v38, v137, v128
	s_delay_alu instid0(VALU_DEP_2) | instskip(NEXT) | instid1(VALU_DEP_2)
	v_fma_f16 v130, v39, v41, -v74
	v_fma_f16 v138, v81, v42, -v38
	ds_load_2addr_b32 v[38:39], v241 offset0:56 offset1:146
	v_mul_f16_e64 v81, v81, v128
	s_delay_alu instid0(VALU_DEP_1) | instskip(NEXT) | instid1(VALU_DEP_1)
	v_fmac_f16_e64 v81, v137, v42
	v_add_f16_e64 v191, v124, v81
	s_wait_dscnt 0x0
	v_lshrrev_b32_e32 v151, 16, v38
	v_lshrrev_b32_e32 v171, 16, v39
	v_mul_f16_e64 v173, v38, v122
	v_mul_f16_e64 v174, v39, v102
	s_delay_alu instid0(VALU_DEP_4) | instskip(NEXT) | instid1(VALU_DEP_3)
	v_mul_f16_e64 v74, v151, v122
	v_fmac_f16_e64 v173, v151, v47
	s_delay_alu instid0(VALU_DEP_3) | instskip(NEXT) | instid1(VALU_DEP_3)
	v_fmac_f16_e64 v174, v171, v43
	v_fma_f16 v152, v38, v47, -v74
	v_mul_f16_e64 v74, v171, v102
	s_delay_alu instid0(VALU_DEP_2) | instskip(NEXT) | instid1(VALU_DEP_2)
	v_sub_f16_e64 v206, v126, v152
	v_fma_f16 v172, v39, v43, -v74
	s_clause 0x1
	global_load_b32 v197, v[36:37], off offset:32
	global_load_b128 v[36:39], v[36:37], off offset:16
	s_wait_loadcnt 0x1
	v_lshrrev_b32_e32 v25, 16, v197
	s_wait_loadcnt 0x0
	v_lshrrev_b32_e32 v139, 16, v36
	v_lshrrev_b32_e32 v169, 16, v37
	;; [unrolled: 1-line block ×3, first 2 shown]
	s_delay_alu instid0(VALU_DEP_3) | instskip(NEXT) | instid1(VALU_DEP_1)
	v_mul_f16_e64 v74, v175, v139
	v_fma_f16 v176, v83, v36, -v74
	ds_load_2addr_b32 v[74:75], v92 offset0:84 offset1:174
	v_mul_f16_e64 v83, v83, v139
	s_delay_alu instid0(VALU_DEP_1)
	v_fmac_f16_e64 v83, v175, v36
	s_wait_dscnt 0x0
	v_lshrrev_b32_e32 v177, 16, v74
	v_lshrrev_b32_e32 v183, 16, v75
	v_mul_f16_e64 v185, v74, v131
	v_mul_f16_e64 v187, v75, v169
	s_delay_alu instid0(VALU_DEP_4) | instskip(NEXT) | instid1(VALU_DEP_3)
	v_mul_f16_e64 v99, v177, v131
	v_fmac_f16_e64 v185, v177, v33
	s_delay_alu instid0(VALU_DEP_3) | instskip(NEXT) | instid1(VALU_DEP_3)
	v_fmac_f16_e64 v187, v183, v37
	v_fma_f16 v179, v74, v33, -v99
	v_mul_f16_e64 v99, v183, v169
	v_add_f16_e64 v183, v116, v138
	v_sub_f16_e64 v225, v173, v185
	v_add_f16_e64 v226, v173, v185
	v_add_f16_e64 v202, v152, v179
	v_fma_f16 v184, v75, v37, -v99
	v_lshrrev_b32_e32 v99, 16, v38
	v_sub_f16_e64 v231, v152, v179
	s_delay_alu instid0(VALU_DEP_3) | instskip(NEXT) | instid1(VALU_DEP_3)
	v_add_f16_e64 v127, v172, v184
	v_mul_f16_e64 v74, v188, v99
	s_delay_alu instid0(VALU_DEP_1) | instskip(SKIP_3) | instid1(VALU_DEP_2)
	v_fma_f16 v189, v86, v38, -v74
	ds_load_2addr_b32 v[74:75], v251 offset0:112 offset1:202
	v_mul_f16_e32 v86, v86, v99
	v_sub_f16_e64 v199, v176, v189
	v_fmac_f16_e64 v86, v188, v38
	s_delay_alu instid0(VALU_DEP_1) | instskip(SKIP_4) | instid1(VALU_DEP_2)
	v_sub_f16_e64 v194, v83, v86
	s_wait_dscnt 0x0
	v_lshrrev_b32_e32 v78, 16, v74
	v_mul_f16_e32 v82, v74, v109
	v_mul_f16_e32 v95, v75, v108
	v_fmac_f16_e32 v82, v78, v35
	v_mul_f16_e32 v78, v78, v109
	s_delay_alu instid0(VALU_DEP_2) | instskip(NEXT) | instid1(VALU_DEP_2)
	v_sub_f16_e64 v208, v82, v185
	v_fma_f16 v78, v74, v35, -v78
	v_lshrrev_b32_e32 v74, 16, v75
	s_delay_alu instid0(VALU_DEP_2) | instskip(NEXT) | instid1(VALU_DEP_2)
	v_sub_f16_e64 v207, v78, v179
	v_mul_f16_e32 v88, v74, v108
	v_fmac_f16_e32 v95, v74, v39
	v_add_f16_e64 v204, v126, v78
	v_sub_f16_e64 v227, v126, v78
	v_add_f16_e64 v206, v206, v207
	v_fma_f16 v88, v75, v39, -v88
	v_lshrrev_b32_e32 v75, 16, v123
	v_sub_f16_e64 v207, v133, v173
	v_sub_f16_e64 v198, v134, v95
	s_delay_alu instid0(VALU_DEP_4) | instskip(NEXT) | instid1(VALU_DEP_4)
	v_add_f16_e64 v137, v130, v88
	v_mul_f16_e32 v125, v75, v25
	v_sub_f16_e64 v175, v184, v88
	v_add_f16_e64 v207, v207, v208
	v_sub_f16_e64 v208, v84, v89
	s_delay_alu instid0(VALU_DEP_4) | instskip(SKIP_1) | instid1(VALU_DEP_3)
	v_fma_f16 v125, v123, v197, -v125
	v_mul_f16_e32 v123, v123, v25
	v_add_f16_e64 v208, v208, v210
	v_sub_f16_e64 v210, v87, v94
	s_delay_alu instid0(VALU_DEP_4) | instskip(NEXT) | instid1(VALU_DEP_4)
	v_add_f16_e64 v177, v138, v125
	v_fmac_f16_e64 v123, v75, v197
	ds_load_2addr_b32 v[74:75], v158 offset1:90
	v_sub_f16_e64 v188, v189, v125
	v_add_f16_e64 v210, v210, v211
	v_add_f16_e64 v211, v89, v103
	;; [unrolled: 1-line block ×3, first 2 shown]
	v_sub_f16_e64 v192, v86, v123
	v_sub_f16_e64 v196, v81, v123
	;; [unrolled: 1-line block ×3, first 2 shown]
	v_fma_f16 v211, -0.5, v211, v79
	v_fmac_f16_e64 v216, 0x34f2, v210
	v_fmac_f16_e64 v214, 0x34f2, v210
	global_wb scope:SCOPE_SE
	s_wait_dscnt 0x0
	s_barrier_signal -1
	v_fma_f16 v219, 0x3b9c, v218, v211
	v_mul_f16_e64 v221, 0x38b4, v216
	v_fmac_f16_e64 v211, 0xbb9c, v218
	s_barrier_wait -1
	global_inv scope:SCOPE_SE
	v_fmac_f16_e64 v219, 0x38b4, v220
	v_fma_f16 v127, -0.5, v127, v75
	v_lshrrev_b32_e32 v151, 16, v75
	v_add_f16_e64 v171, v75, v130
	v_fmac_f16_e64 v75, -0.5, v137
	v_sub_f16_e64 v137, v172, v130
	v_fmac_f16_e64 v219, 0x34f2, v208
	v_fma_f16 v202, -0.5, v202, v74
	v_fma_f16 v204, -0.5, v204, v74
	v_fmac_f16_e64 v211, 0xb8b4, v220
	v_add_f16_e64 v137, v137, v175
	v_add_f16_e64 v175, v176, v189
	v_fmac_f16_e64 v221, 0x3a79, v219
	v_mul_f16_e64 v219, 0xb8b4, v219
	v_fmac_f16_e64 v211, 0x34f2, v208
	s_delay_alu instid0(VALU_DEP_4) | instskip(SKIP_4) | instid1(VALU_DEP_4)
	v_fma_f16 v175, -0.5, v175, v116
	v_fmac_f16_e64 v116, -0.5, v177
	v_sub_f16_e64 v177, v176, v138
	v_fmac_f16_e64 v219, 0x3a79, v216
	v_add_f16_e64 v216, v80, v87
	v_fma_f16 v195, 0xbb9c, v194, v116
	s_delay_alu instid0(VALU_DEP_4) | instskip(SKIP_4) | instid1(VALU_DEP_4)
	v_add_f16_e64 v177, v177, v188
	v_add_f16_e64 v188, v83, v86
	v_fmac_f16_e64 v116, 0x3b9c, v194
	v_add_f16_e64 v216, v216, v94
	v_fmac_f16_e64 v195, 0x38b4, v196
	v_fma_f16 v188, -0.5, v188, v124
	v_fmac_f16_e64 v124, -0.5, v190
	v_sub_f16_e64 v190, v83, v81
	v_fmac_f16_e64 v116, 0xb8b4, v196
	v_add_f16_e64 v216, v216, v104
	v_sub_f16_e32 v81, v81, v83
	v_fma_f16 v200, 0x3b9c, v199, v124
	v_add_f16_e64 v190, v190, v192
	v_sub_f16_e64 v192, v174, v187
	v_fmac_f16_e64 v124, 0xbb9c, v199
	v_fmac_f16_e64 v116, 0x34f2, v177
	v_add_f16_e64 v216, v216, v115
	v_fmac_f16_e64 v200, 0xb8b4, v201
	v_fma_f16 v193, 0xbb9c, v192, v75
	v_fmac_f16_e64 v75, 0x3b9c, v192
	v_fmac_f16_e64 v124, 0x38b4, v201
	v_mul_f16_e64 v203, 0xb4f2, v116
	v_fmac_f16_e64 v200, 0x34f2, v190
	v_fmac_f16_e64 v195, 0x34f2, v177
	;; [unrolled: 1-line block ×5, first 2 shown]
	s_delay_alu instid0(VALU_DEP_3) | instskip(NEXT) | instid1(VALU_DEP_3)
	v_fmac_f16_e64 v75, 0x34f2, v137
	v_fmac_f16_e64 v203, 0x3b9c, v124
	s_delay_alu instid0(VALU_DEP_3) | instskip(NEXT) | instid1(VALU_DEP_2)
	v_fmac_f16_e64 v193, 0x34f2, v137
	v_add_f16_e64 v205, v75, v203
	v_sub_f16_e64 v75, v75, v203
	v_lshrrev_b32_e32 v203, 16, v74
	v_add_f16_e32 v74, v74, v126
	v_sub_f16_e64 v126, v152, v126
	s_delay_alu instid0(VALU_DEP_3) | instskip(NEXT) | instid1(VALU_DEP_3)
	v_add_f16_e64 v76, v203, v133
	v_add_f16_e64 v74, v74, v152
	v_fma_f16 v152, 0xbb9c, v225, v204
	v_fmac_f16_e64 v204, 0x3b9c, v225
	v_fma_f16 v226, -0.5, v226, v203
	v_add_f16_e64 v76, v76, v173
	v_add_f16_e64 v74, v74, v179
	s_delay_alu instid0(VALU_DEP_3) | instskip(NEXT) | instid1(VALU_DEP_3)
	v_fma_f16 v228, 0xbb9c, v227, v226
	v_add_f16_e64 v76, v76, v185
	s_delay_alu instid0(VALU_DEP_3)
	v_add_f16_e32 v74, v74, v78
	v_sub_f16_e64 v78, v179, v78
	v_fmac_f16_e64 v226, 0x3b9c, v227
	v_fmac_f16_e64 v228, 0xb8b4, v231
	v_add_f16_e32 v76, v76, v82
	v_add_f16_e64 v222, v74, v77
	v_add_f16_e32 v78, v126, v78
	v_sub_f16_e64 v126, v173, v133
	v_fmac_f16_e64 v226, 0x38b4, v231
	v_add_f16_e64 v223, v76, v216
	v_sub_f16_e32 v74, v74, v77
	v_sub_f16_e64 v76, v76, v216
	v_fmac_f16_e64 v228, 0x34f2, v207
	v_fmac_f16_e64 v226, 0x34f2, v207
	v_pack_b32_f16 v222, v222, v223
	v_sub_f16_e64 v223, v133, v82
	v_add_f16_e64 v133, v133, v82
	v_sub_f16_e64 v82, v185, v82
	v_pack_b32_f16 v74, v74, v76
	v_add_f16_e64 v234, v228, v219
	v_fmac_f16_e64 v152, 0x38b4, v223
	v_fmac_f16_e64 v204, 0xb8b4, v223
	v_fmac_f16_e64 v203, -0.5, v133
	v_fma_f16 v224, 0x3b9c, v223, v202
	v_fmac_f16_e64 v202, 0xbb9c, v223
	v_fmac_f16_e64 v152, 0x34f2, v78
	;; [unrolled: 1-line block ×3, first 2 shown]
	v_add_f16_e32 v78, v126, v82
	v_sub_f16_e32 v82, v89, v84
	v_sub_f16_e32 v89, v103, v114
	v_fma_f16 v103, 0x3b9c, v231, v203
	v_fmac_f16_e64 v203, 0xbb9c, v231
	v_add_f16_e32 v84, v84, v114
	v_fmac_f16_e64 v202, 0xb8b4, v225
	v_fmac_f16_e64 v224, 0x38b4, v225
	v_fmac_f16_e64 v103, 0xb8b4, v227
	v_fmac_f16_e64 v203, 0x38b4, v227
	v_fmac_f16_e32 v79, -0.5, v84
	v_sub_f16_e32 v84, v104, v115
	v_fmac_f16_e64 v202, 0x34f2, v206
	v_fmac_f16_e32 v103, 0x34f2, v78
	v_fmac_f16_e64 v203, 0x34f2, v78
	v_add_f16_e32 v78, v82, v89
	v_add_f16_e32 v82, v87, v115
	v_fmac_f16_e64 v224, 0x34f2, v206
	s_delay_alu instid0(VALU_DEP_2)
	v_fmac_f16_e32 v80, -0.5, v82
	v_sub_f16_e32 v82, v94, v87
	v_fma_f16 v87, 0xbb9c, v220, v79
	v_fmac_f16_e64 v79, 0x3b9c, v220
	v_fma_f16 v94, 0x3b9c, v198, v127
	v_add_f16_e64 v233, v224, v221
	v_fmac_f16_e64 v127, 0xbb9c, v198
	v_fmac_f16_e64 v87, 0x38b4, v218
	;; [unrolled: 1-line block ×4, first 2 shown]
	v_pack_b32_f16 v233, v233, v234
	v_fmac_f16_e64 v127, 0xb8b4, v192
	v_fmac_f16_e32 v87, 0x34f2, v78
	v_fmac_f16_e32 v79, 0x34f2, v78
	v_add_f16_e32 v78, v82, v84
	v_fma_f16 v82, 0x3b9c, v217, v80
	v_fmac_f16_e64 v80, 0xbb9c, v217
	v_mul_f16_e32 v84, 0xbb9c, v87
	ds_store_2addr_b32 v232, v222, v233 offset1:3
	v_fmac_f16_e64 v82, 0xb8b4, v215
	v_fmac_f16_e64 v80, 0x38b4, v215
	s_delay_alu instid0(VALU_DEP_2) | instskip(NEXT) | instid1(VALU_DEP_2)
	v_fmac_f16_e32 v82, 0x34f2, v78
	v_fmac_f16_e32 v80, 0x34f2, v78
	s_delay_alu instid0(VALU_DEP_2) | instskip(SKIP_2) | instid1(VALU_DEP_3)
	v_mul_f16_e32 v78, 0x3b9c, v82
	v_fmac_f16_e32 v84, 0x34f2, v82
	v_mul_f16_e32 v82, 0xb4f2, v79
	v_fmac_f16_e32 v78, 0x34f2, v87
	s_delay_alu instid0(VALU_DEP_3) | instskip(NEXT) | instid1(VALU_DEP_3)
	v_add_f16_e32 v87, v103, v84
	v_fmac_f16_e32 v82, 0x3b9c, v80
	v_mul_f16_e32 v80, 0xb4f2, v80
	s_delay_alu instid0(VALU_DEP_4) | instskip(NEXT) | instid1(VALU_DEP_2)
	v_sub_f16_e64 v76, v152, v78
	v_fmac_f16_e32 v80, 0xbb9c, v79
	v_add_f16_e64 v79, v152, v78
	v_sub_f16_e32 v78, v103, v84
	v_sub_f16_e64 v84, v125, v189
	s_delay_alu instid0(VALU_DEP_4) | instskip(NEXT) | instid1(VALU_DEP_4)
	v_add_f16_e64 v89, v203, v80
	v_pack_b32_f16 v79, v79, v87
	v_add_f16_e64 v87, v204, v82
	v_pack_b32_f16 v76, v76, v78
	s_delay_alu instid0(VALU_DEP_2) | instskip(SKIP_3) | instid1(VALU_DEP_2)
	v_pack_b32_f16 v87, v87, v89
	ds_store_2addr_b32 v232, v79, v87 offset0:6 offset1:9
	v_mul_f16_e64 v79, 0xba79, v211
	v_mul_f16_e64 v87, 0xba79, v214
	v_fmac_f16_e64 v79, 0x38b4, v214
	s_delay_alu instid0(VALU_DEP_2) | instskip(NEXT) | instid1(VALU_DEP_2)
	v_fmac_f16_e64 v87, 0xb8b4, v211
	v_add_f16_e64 v77, v202, v79
	s_delay_alu instid0(VALU_DEP_2) | instskip(SKIP_1) | instid1(VALU_DEP_2)
	v_add_f16_e64 v89, v226, v87
	v_sub_f16_e64 v78, v226, v87
	v_pack_b32_f16 v77, v77, v89
	ds_store_2addr_b32 v232, v77, v74 offset0:12 offset1:15
	v_sub_f16_e64 v74, v224, v221
	v_sub_f16_e64 v77, v228, v219
	v_lshlrev_b32_e32 v228, 2, v5
	v_add_f16_e32 v5, v3, v9
	s_delay_alu instid0(VALU_DEP_3)
	v_pack_b32_f16 v74, v74, v77
	v_sub_f16_e64 v77, v203, v80
	v_sub_f16_e64 v80, v95, v187
	ds_store_2addr_b32 v232, v74, v76 offset0:18 offset1:21
	v_sub_f16_e64 v74, v204, v82
	v_sub_f16_e64 v82, v138, v176
	;; [unrolled: 1-line block ×4, first 2 shown]
	s_delay_alu instid0(VALU_DEP_4) | instskip(NEXT) | instid1(VALU_DEP_4)
	v_pack_b32_f16 v74, v74, v77
	v_add_f16_e32 v82, v82, v84
	v_add_f16_e64 v84, v191, v83
	v_pack_b32_f16 v76, v76, v78
	v_add_f16_e32 v79, v79, v80
	v_add_f16_e64 v80, v183, v176
	v_sub_f16_e64 v77, v130, v88
	v_add_f16_e32 v83, v84, v86
	v_sub_f16_e32 v84, v123, v86
	v_fma_f16 v86, 0x3b9c, v196, v175
	ds_store_2addr_b32 v232, v74, v76 offset0:24 offset1:27
	v_sub_f16_e64 v74, v130, v172
	v_sub_f16_e64 v76, v88, v184
	v_add_f16_e32 v81, v81, v84
	v_fma_f16 v84, 0xbb9c, v201, v188
	v_fmac_f16_e64 v86, 0x38b4, v194
	v_add_f16_e64 v80, v80, v189
	v_add_f16_e32 v74, v74, v76
	v_add_f16_e64 v76, v171, v172
	v_fmac_f16_e64 v84, 0xb8b4, v199
	v_fmac_f16_e32 v86, 0x34f2, v82
	v_add_f16_e32 v80, v80, v125
	v_add_f16_e32 v83, v83, v123
	v_add_f16_e64 v76, v76, v184
	v_fmac_f16_e32 v84, 0x34f2, v81
	v_sub_f16_e64 v78, v172, v184
	v_fmac_f16_e32 v94, 0x34f2, v74
	v_fmac_f16_e64 v175, 0xbb9c, v196
	v_add_f16_e32 v76, v76, v88
	v_mul_f16_e32 v87, 0x38b4, v84
	v_fmac_f16_e64 v188, 0x3b9c, v201
	v_fmac_f16_e32 v127, 0x34f2, v74
	v_fmac_f16_e64 v175, 0xb8b4, v194
	v_add_f16_e32 v88, v76, v80
	v_fmac_f16_e32 v87, 0x3a79, v86
	v_mul_f16_e32 v86, 0xb8b4, v86
	v_fmac_f16_e64 v188, 0x38b4, v199
	v_fmac_f16_e64 v175, 0x34f2, v82
	v_sub_f16_e32 v76, v76, v80
	v_add_f16_e32 v104, v94, v87
	v_fmac_f16_e32 v86, 0x3a79, v84
	v_and_b32_e32 v84, 0xffff, v106
	v_fmac_f16_e64 v188, 0x34f2, v81
	v_mul_f16_e64 v74, 0xba79, v175
	s_delay_alu instid0(VALU_DEP_3) | instskip(NEXT) | instid1(VALU_DEP_2)
	v_mul_u32_u24_e32 v84, 30, v84
	v_fmac_f16_e64 v74, 0x38b4, v188
	s_delay_alu instid0(VALU_DEP_2) | instskip(SKIP_1) | instid1(VALU_DEP_1)
	v_add_lshl_u32 v231, v84, v107, 2
	v_add_f16_e64 v84, v151, v134
	v_add_f16_e64 v84, v84, v174
	s_delay_alu instid0(VALU_DEP_1) | instskip(NEXT) | instid1(VALU_DEP_1)
	v_add_f16_e64 v84, v84, v187
	v_add_f16_e32 v84, v84, v95
	s_delay_alu instid0(VALU_DEP_1) | instskip(NEXT) | instid1(VALU_DEP_1)
	v_add_f16_e32 v89, v84, v83
	v_pack_b32_f16 v88, v88, v89
	v_add_f16_e64 v89, v174, v187
	s_delay_alu instid0(VALU_DEP_1) | instskip(NEXT) | instid1(VALU_DEP_1)
	v_fma_f16 v89, -0.5, v89, v151
	v_fmamk_f16 v103, v77, 0xbb9c, v89
	v_fmac_f16_e32 v89, 0x3b9c, v77
	s_delay_alu instid0(VALU_DEP_2) | instskip(NEXT) | instid1(VALU_DEP_2)
	v_fmac_f16_e32 v103, 0xb8b4, v78
	v_fmac_f16_e32 v89, 0x38b4, v78
	s_delay_alu instid0(VALU_DEP_2) | instskip(NEXT) | instid1(VALU_DEP_2)
	v_fmac_f16_e32 v103, 0x34f2, v79
	v_fmac_f16_e32 v89, 0x34f2, v79
	v_add_f16_e32 v79, v127, v74
	v_sub_f16_e32 v74, v127, v74
	s_delay_alu instid0(VALU_DEP_4) | instskip(NEXT) | instid1(VALU_DEP_1)
	v_add_f16_e32 v106, v103, v86
	v_pack_b32_f16 v104, v104, v106
	v_mul_f16_e32 v106, 0xb4f2, v124
	ds_store_2addr_b32 v231, v88, v104 offset1:3
	v_add_f16_e64 v88, v134, v95
	v_sub_f16_e64 v95, v187, v95
	v_mul_f16_e64 v104, 0xbb9c, v195
	v_fmac_f16_e32 v106, 0xbb9c, v116
	s_delay_alu instid0(VALU_DEP_4) | instskip(SKIP_1) | instid1(VALU_DEP_4)
	v_fmac_f16_e64 v151, -0.5, v88
	v_sub_f16_e64 v88, v174, v134
	v_fmac_f16_e64 v104, 0x34f2, v200
	s_delay_alu instid0(VALU_DEP_2) | instskip(NEXT) | instid1(VALU_DEP_4)
	v_add_f16_e32 v88, v88, v95
	v_fma_f16 v95, 0x3b9c, v78, v151
	v_fmac_f16_e64 v151, 0xbb9c, v78
	v_sub_f16_e32 v78, v84, v83
	s_delay_alu instid0(VALU_DEP_3) | instskip(NEXT) | instid1(VALU_DEP_3)
	v_fmac_f16_e32 v95, 0xb8b4, v77
	v_fmac_f16_e64 v151, 0x38b4, v77
	v_mul_f16_e64 v77, 0xba79, v188
	s_delay_alu instid0(VALU_DEP_4) | instskip(NEXT) | instid1(VALU_DEP_4)
	v_pack_b32_f16 v76, v76, v78
	v_fmac_f16_e32 v95, 0x34f2, v88
	s_delay_alu instid0(VALU_DEP_4) | instskip(NEXT) | instid1(VALU_DEP_4)
	v_fmac_f16_e64 v151, 0x34f2, v88
	v_fmac_f16_e64 v77, 0xb8b4, v175
	v_mul_f16_e64 v88, 0x3b9c, v200
	s_delay_alu instid0(VALU_DEP_4) | instskip(NEXT) | instid1(VALU_DEP_3)
	v_add_f16_e32 v114, v95, v104
	v_add_f16_e32 v80, v89, v77
	s_delay_alu instid0(VALU_DEP_3) | instskip(SKIP_1) | instid1(VALU_DEP_3)
	v_fmac_f16_e64 v88, 0x34f2, v195
	v_sub_f16_e32 v77, v89, v77
	v_pack_b32_f16 v79, v79, v80
	s_delay_alu instid0(VALU_DEP_3) | instskip(SKIP_1) | instid1(VALU_DEP_4)
	v_sub_f16_e64 v78, v193, v88
	v_sub_f16_e32 v80, v95, v104
	v_pack_b32_f16 v74, v74, v77
	v_add_f16_e64 v107, v193, v88
	ds_store_2addr_b32 v231, v79, v76 offset0:12 offset1:15
	v_sub_f16_e32 v76, v94, v87
	v_sub_f16_e32 v79, v103, v86
	v_pack_b32_f16 v78, v78, v80
	v_pack_b32_f16 v107, v107, v114
	v_add_f16_e64 v114, v151, v106
	s_delay_alu instid0(VALU_DEP_4) | instskip(NEXT) | instid1(VALU_DEP_2)
	v_pack_b32_f16 v76, v76, v79
	v_pack_b32_f16 v114, v205, v114
	ds_store_2addr_b32 v231, v76, v78 offset0:18 offset1:21
	v_sub_f16_e64 v76, v151, v106
	ds_store_2addr_b32 v231, v107, v114 offset0:6 offset1:9
	v_pack_b32_f16 v75, v75, v76
	ds_store_2addr_b32 v231, v75, v74 offset0:24 offset1:27
	v_sub_f16_e32 v74, v52, v22
	v_sub_f16_e32 v75, v54, v23
	;; [unrolled: 1-line block ×7, first 2 shown]
	v_add_f16_e32 v74, v74, v75
	s_delay_alu instid0(VALU_DEP_3) | instskip(SKIP_4) | instid1(VALU_DEP_4)
	v_add_f16_e32 v23, v23, v54
	v_add_f16_e32 v54, v70, v67
	v_sub_f16_e32 v67, v69, v67
	v_fmamk_f16 v69, v50, 0x3b9c, v1
	v_fmac_f16_e32 v1, 0xbb9c, v50
	v_add_f16_e32 v54, v54, v66
	v_sub_f16_e32 v66, v68, v66
	s_delay_alu instid0(VALU_DEP_4) | instskip(NEXT) | instid1(VALU_DEP_4)
	v_fmac_f16_e32 v69, 0x38b4, v17
	v_fmac_f16_e32 v1, 0xb8b4, v17
	s_delay_alu instid0(VALU_DEP_4) | instskip(NEXT) | instid1(VALU_DEP_4)
	v_add_f16_e32 v54, v54, v68
	v_add_f16_e32 v66, v67, v66
	;; [unrolled: 1-line block ×3, first 2 shown]
	s_delay_alu instid0(VALU_DEP_4) | instskip(SKIP_1) | instid1(VALU_DEP_3)
	v_fmac_f16_e32 v1, 0x34f2, v74
	v_fmac_f16_e32 v69, 0x34f2, v74
	v_add_f16_e32 v62, v67, v63
	v_sub_f16_e32 v63, v65, v63
	s_delay_alu instid0(VALU_DEP_2) | instskip(NEXT) | instid1(VALU_DEP_2)
	v_add_f16_e32 v62, v62, v65
	v_add_f16_e32 v60, v60, v63
	v_fmamk_f16 v63, v53, 0xbb9c, v14
	v_fmamk_f16 v65, v57, 0x3b9c, v11
	v_fmac_f16_e32 v11, 0xbb9c, v57
	v_add_f16_e32 v68, v6, v62
	v_fmac_f16_e32 v14, 0x3b9c, v53
	v_fmac_f16_e32 v63, 0xb8b4, v21
	;; [unrolled: 1-line block ×4, first 2 shown]
	v_sub_f16_e32 v6, v6, v62
	v_fmac_f16_e32 v14, 0x38b4, v21
	v_fmac_f16_e32 v63, 0x34f2, v60
	;; [unrolled: 1-line block ×4, first 2 shown]
	v_sub_nc_u16 v57, v72, v0
	v_fmac_f16_e32 v14, 0x34f2, v60
	v_mul_f16_e32 v67, 0x38b4, v63
	s_delay_alu instid0(VALU_DEP_3) | instskip(NEXT) | instid1(VALU_DEP_2)
	v_mul_lo_u16 v0, v57, 36
	v_fmac_f16_e32 v67, 0x3a79, v65
	v_mul_f16_e32 v65, 0xb8b4, v65
	s_delay_alu instid0(VALU_DEP_3) | instskip(NEXT) | instid1(VALU_DEP_3)
	v_and_b32_e32 v0, 0xffff, v0
	v_add_f16_e32 v73, v69, v67
	s_delay_alu instid0(VALU_DEP_3) | instskip(SKIP_1) | instid1(VALU_DEP_4)
	v_fmac_f16_e32 v65, 0x3a79, v63
	v_add_f16_e32 v63, v61, v54
	v_add_co_u32 v0, s2, s6, v0
	s_delay_alu instid0(VALU_DEP_2) | instskip(SKIP_3) | instid1(VALU_DEP_3)
	v_pack_b32_f16 v63, v63, v68
	v_add_f16_e32 v68, v4, v7
	v_sub_f16_e32 v4, v7, v9
	v_mul_f16_e32 v7, 0xb4f2, v10
	v_fma_f16 v68, -0.5, v68, v2
	v_fmac_f16_e32 v2, -0.5, v5
	s_delay_alu instid0(VALU_DEP_4)
	v_add_f16_e32 v3, v3, v4
	v_mul_f16_e32 v5, 0xbb9c, v58
	v_fmac_f16_e32 v7, 0xbb9c, v16
	v_fmamk_f16 v70, v52, 0xbb9c, v68
	v_fmamk_f16 v4, v22, 0x3b9c, v2
	v_fmac_f16_e32 v2, 0xbb9c, v22
	v_fmac_f16_e32 v5, 0x34f2, v59
	;; [unrolled: 1-line block ×6, first 2 shown]
	s_delay_alu instid0(VALU_DEP_4) | instskip(NEXT) | instid1(VALU_DEP_4)
	v_fmac_f16_e32 v68, 0x38b4, v22
	v_fmac_f16_e32 v70, 0x34f2, v23
	s_delay_alu instid0(VALU_DEP_4) | instskip(NEXT) | instid1(VALU_DEP_4)
	v_fmac_f16_e32 v4, 0x34f2, v3
	v_fmac_f16_e32 v2, 0x34f2, v3
	v_mul_f16_e32 v3, 0x3b9c, v59
	v_fmac_f16_e32 v68, 0x34f2, v23
	v_add_f16_e32 v75, v70, v65
	v_add_f16_e32 v10, v4, v5
	v_sub_f16_e32 v4, v4, v5
	v_fmac_f16_e32 v3, 0x34f2, v58
	s_delay_alu instid0(VALU_DEP_4) | instskip(NEXT) | instid1(VALU_DEP_2)
	v_pack_b32_f16 v73, v73, v75
	v_add_f16_e32 v9, v15, v3
	v_sub_f16_e32 v3, v15, v3
	ds_store_2addr_b32 v228, v63, v73 offset1:3
	v_pack_b32_f16 v9, v9, v10
	v_add_f16_e32 v10, v2, v7
	v_pack_b32_f16 v3, v3, v4
	v_sub_f16_e32 v2, v2, v7
	s_delay_alu instid0(VALU_DEP_3) | instskip(NEXT) | instid1(VALU_DEP_2)
	v_pack_b32_f16 v10, v64, v10
	v_pack_b32_f16 v2, v18, v2
	ds_store_2addr_b32 v228, v9, v10 offset0:6 offset1:9
	v_mul_f16_e32 v9, 0xba79, v11
	v_mul_f16_e32 v10, 0xba79, v14
	s_delay_alu instid0(VALU_DEP_2) | instskip(NEXT) | instid1(VALU_DEP_2)
	v_fmac_f16_e32 v9, 0x38b4, v14
	v_fmac_f16_e32 v10, 0xb8b4, v11
	v_sub_f16_e32 v11, v61, v54
	s_delay_alu instid0(VALU_DEP_3) | instskip(NEXT) | instid1(VALU_DEP_3)
	v_add_f16_e32 v13, v1, v9
	v_add_f16_e32 v14, v68, v10
	s_delay_alu instid0(VALU_DEP_3) | instskip(SKIP_2) | instid1(VALU_DEP_4)
	v_pack_b32_f16 v6, v11, v6
	v_sub_f16_e32 v11, v70, v65
	v_sub_f16_e32 v1, v1, v9
	v_pack_b32_f16 v13, v13, v14
	ds_store_2addr_b32 v228, v13, v6 offset0:12 offset1:15
	v_sub_f16_e32 v6, v69, v67
	s_delay_alu instid0(VALU_DEP_1) | instskip(SKIP_2) | instid1(VALU_DEP_1)
	v_pack_b32_f16 v5, v6, v11
	ds_store_2addr_b32 v228, v5, v3 offset0:18 offset1:21
	v_sub_f16_e32 v3, v68, v10
	v_pack_b32_f16 v1, v1, v3
	ds_store_2addr_b32 v228, v2, v1 offset0:24 offset1:27
	s_wait_alu 0xf1ff
	v_add_co_ci_u32_e64 v1, null, s7, 0, s2
	global_wb scope:SCOPE_SE
	s_wait_dscnt 0x0
	s_barrier_signal -1
	s_barrier_wait -1
	global_inv scope:SCOPE_SE
	s_clause 0x2
	global_load_b32 v171, v[0:1], off offset:140
	global_load_b128 v[233:236], v[0:1], off offset:108
	global_load_b128 v[192:195], v[0:1], off offset:124
	ds_load_2addr_b32 v[13:14], v97 offset0:108 offset1:198
	ds_load_2addr_b32 v[15:16], v165 offset0:80 offset1:170
	;; [unrolled: 1-line block ×9, first 2 shown]
	s_wait_dscnt 0x8
	v_lshrrev_b32_e32 v0, 16, v13
	s_wait_dscnt 0x7
	v_lshrrev_b32_e32 v5, 16, v16
	;; [unrolled: 2-line block ×5, first 2 shown]
	s_wait_loadcnt 0x2
	v_lshrrev_b32_e32 v4, 16, v171
	s_wait_loadcnt 0x1
	v_lshrrev_b32_e32 v1, 16, v236
	v_lshrrev_b32_e32 v2, 16, v234
	s_wait_loadcnt 0x0
	v_lshrrev_b32_e32 v3, 16, v195
	s_wait_dscnt 0x0
	v_mul_f16_e64 v127, v190, v4
	v_mul_f16_e32 v52, v13, v1
	v_mul_f16_e32 v53, v15, v2
	v_mul_f16_e64 v59, v172, v3
	s_delay_alu instid0(VALU_DEP_3) | instskip(SKIP_2) | instid1(VALU_DEP_2)
	v_fmac_f16_e64 v52, v0, v236
	v_mul_f16_e32 v0, v0, v1
	v_lshrrev_b32_e32 v1, 16, v15
	v_fma_f16 v67, v13, v236, -v0
	s_delay_alu instid0(VALU_DEP_2) | instskip(SKIP_4) | instid1(VALU_DEP_4)
	v_fmac_f16_e64 v53, v1, v234
	v_mul_f16_e32 v1, v1, v2
	v_lshrrev_b32_e32 v2, 16, v193
	v_lshrrev_b32_e32 v0, 16, v17
	;; [unrolled: 1-line block ×3, first 2 shown]
	v_fma_f16 v83, v15, v234, -v1
	s_delay_alu instid0(VALU_DEP_4) | instskip(NEXT) | instid1(VALU_DEP_2)
	v_mul_f16_e32 v58, v17, v2
	v_add_f16_e64 v95, v174, v83
	s_delay_alu instid0(VALU_DEP_2) | instskip(SKIP_2) | instid1(VALU_DEP_3)
	v_fmac_f16_e64 v58, v0, v193
	v_mul_f16_e32 v0, v0, v2
	v_lshrrev_b32_e32 v2, 16, v172
	v_sub_f16_e32 v66, v52, v58
	s_delay_alu instid0(VALU_DEP_3) | instskip(NEXT) | instid1(VALU_DEP_3)
	v_fma_f16 v76, v17, v193, -v0
	v_fmac_f16_e64 v59, v2, v195
	v_mul_f16_e32 v2, v2, v3
	v_lshrrev_b32_e32 v3, 16, v235
	s_delay_alu instid0(VALU_DEP_4) | instskip(NEXT) | instid1(VALU_DEP_4)
	v_add_f16_e32 v0, v67, v76
	v_sub_f16_e32 v73, v53, v59
	s_delay_alu instid0(VALU_DEP_4) | instskip(SKIP_3) | instid1(VALU_DEP_4)
	v_fma_f16 v84, v172, v195, -v2
	v_lshrrev_b32_e32 v2, 16, v192
	v_mul_f16_e64 v123, v188, v3
	v_fma_f16 v50, -0.5, v0, v174
	v_add_f16_e32 v0, v83, v84
	v_sub_f16_e32 v1, v76, v84
	v_mul_f16_e64 v87, v184, v2
	s_delay_alu instid0(VALU_DEP_3) | instskip(SKIP_1) | instid1(VALU_DEP_2)
	v_fmac_f16_e64 v174, -0.5, v0
	v_sub_f16_e32 v0, v67, v83
	v_fma_f16 v64, 0xbb9c, v66, v174
	s_delay_alu instid0(VALU_DEP_2) | instskip(SKIP_4) | instid1(VALU_DEP_4)
	v_add_f16_e32 v62, v0, v1
	v_lshrrev_b32_e32 v1, 16, v233
	v_lshrrev_b32_e32 v0, 16, v177
	v_fmac_f16_e64 v174, 0x3b9c, v66
	v_fmac_f16_e32 v64, 0x38b4, v73
	v_mul_f16_e64 v60, v177, v1
	s_delay_alu instid0(VALU_DEP_3) | instskip(NEXT) | instid1(VALU_DEP_3)
	v_fmac_f16_e64 v174, 0xb8b4, v73
	v_fmac_f16_e32 v64, 0x34f2, v62
	s_delay_alu instid0(VALU_DEP_3) | instskip(SKIP_3) | instid1(VALU_DEP_3)
	v_fmac_f16_e64 v60, v0, v233
	v_mul_f16_e32 v0, v0, v1
	v_lshrrev_b32_e32 v1, 16, v184
	v_fmac_f16_e64 v174, 0x34f2, v62
	v_fma_f16 v65, v177, v233, -v0
	s_delay_alu instid0(VALU_DEP_3) | instskip(SKIP_2) | instid1(VALU_DEP_2)
	v_fmac_f16_e64 v87, v1, v192
	v_mul_f16_e32 v1, v1, v2
	v_lshrrev_b32_e32 v2, 16, v188
	v_fma_f16 v126, v184, v192, -v1
	ds_load_2addr_b32 v[184:185], v98 offset0:60 offset1:150
	v_fmac_f16_e64 v123, v2, v235
	v_mul_f16_e32 v2, v2, v3
	v_lshrrev_b32_e32 v3, 16, v194
	s_delay_alu instid0(VALU_DEP_3) | instskip(NEXT) | instid1(VALU_DEP_3)
	v_add_f16_e64 v198, v60, v123
	v_fma_f16 v133, v188, v235, -v2
	s_delay_alu instid0(VALU_DEP_1) | instskip(SKIP_4) | instid1(VALU_DEP_2)
	v_add_f16_e64 v134, v65, v133
	s_wait_dscnt 0x0
	v_lshrrev_b32_e32 v1, 16, v185
	v_mul_f16_e64 v125, v185, v3
	v_lshrrev_b32_e32 v217, 16, v184
	v_fmac_f16_e64 v125, v1, v194
	v_mul_f16_e32 v1, v1, v3
	v_lshrrev_b32_e32 v3, 16, v190
	s_delay_alu instid0(VALU_DEP_3) | instskip(NEXT) | instid1(VALU_DEP_3)
	v_sub_f16_e32 v70, v87, v125
	v_fma_f16 v106, v185, v194, -v1
	s_delay_alu instid0(VALU_DEP_3) | instskip(SKIP_1) | instid1(VALU_DEP_3)
	v_fmac_f16_e64 v127, v3, v171
	v_mul_f16_e32 v3, v3, v4
	v_add_f16_e32 v0, v126, v106
	s_delay_alu instid0(VALU_DEP_3) | instskip(NEXT) | instid1(VALU_DEP_3)
	v_sub_f16_e32 v75, v123, v127
	v_fma_f16 v130, v190, v171, -v3
	v_lshrrev_b32_e32 v3, 16, v175
	v_sub_f16_e32 v74, v126, v106
	v_fma_f16 v61, -0.5, v0, v65
	s_delay_alu instid0(VALU_DEP_4) | instskip(SKIP_2) | instid1(VALU_DEP_3)
	v_add_f16_e64 v0, v133, v130
	v_sub_f16_e64 v1, v106, v130
	v_sub_f16_e64 v81, v133, v130
	v_fmac_f16_e32 v65, -0.5, v0
	v_sub_f16_e64 v0, v126, v133
	s_delay_alu instid0(VALU_DEP_2) | instskip(NEXT) | instid1(VALU_DEP_2)
	v_fmamk_f16 v86, v70, 0xbb9c, v65
	v_add_f16_e32 v69, v0, v1
	v_add_f16_e32 v0, v87, v125
	v_sub_f16_e32 v1, v125, v127
	v_fmac_f16_e32 v65, 0x3b9c, v70
	v_fmac_f16_e32 v86, 0x38b4, v75
	s_delay_alu instid0(VALU_DEP_4) | instskip(SKIP_1) | instid1(VALU_DEP_4)
	v_fma_f16 v63, -0.5, v0, v60
	v_add_f16_e32 v0, v123, v127
	v_fmac_f16_e32 v65, 0xb8b4, v75
	s_delay_alu instid0(VALU_DEP_4) | instskip(NEXT) | instid1(VALU_DEP_3)
	v_fmac_f16_e32 v86, 0x34f2, v69
	v_fmac_f16_e32 v60, -0.5, v0
	v_sub_f16_e32 v0, v87, v123
	s_delay_alu instid0(VALU_DEP_4) | instskip(NEXT) | instid1(VALU_DEP_3)
	v_fmac_f16_e32 v65, 0x34f2, v69
	v_fmamk_f16 v88, v74, 0x3b9c, v60
	s_delay_alu instid0(VALU_DEP_3)
	v_add_f16_e32 v82, v0, v1
	v_mul_lo_u16 v0, 0x89, v8
	v_lshrrev_b32_e32 v8, 16, v14
	v_fmac_f16_e32 v60, 0xbb9c, v74
	v_mul_f16_e32 v2, 0xb4f2, v65
	v_fmac_f16_e32 v88, 0xb8b4, v81
	v_lshrrev_b16 v21, 12, v0
	s_delay_alu instid0(VALU_DEP_4) | instskip(NEXT) | instid1(VALU_DEP_3)
	v_fmac_f16_e32 v60, 0x38b4, v81
	v_fmac_f16_e32 v88, 0x34f2, v82
	s_delay_alu instid0(VALU_DEP_3) | instskip(SKIP_1) | instid1(VALU_DEP_4)
	v_mul_lo_u16 v1, v21, 30
	v_and_b32_e32 v21, 0xffff, v21
	v_fmac_f16_e32 v60, 0x34f2, v82
	s_delay_alu instid0(VALU_DEP_3) | instskip(NEXT) | instid1(VALU_DEP_3)
	v_sub_nc_u16 v1, v91, v1
	v_mul_u32_u24_e32 v21, 0x12c, v21
	s_delay_alu instid0(VALU_DEP_3) | instskip(NEXT) | instid1(VALU_DEP_3)
	v_fmac_f16_e32 v2, 0x3b9c, v60
	v_and_b32_e32 v20, 0xff, v1
	s_delay_alu instid0(VALU_DEP_2) | instskip(SKIP_1) | instid1(VALU_DEP_3)
	v_add_f16_e64 v124, v174, v2
	v_sub_f16_e64 v68, v174, v2
	v_mad_co_u64_u32 v[190:191], null, v20, 36, s[6:7]
	s_clause 0x2
	global_load_b128 v[77:80], v[190:191], off offset:108
	global_load_b128 v[153:156], v[190:191], off offset:124
	global_load_b32 v211, v[190:191], off offset:140
	s_wait_loadcnt 0x2
	v_lshrrev_b32_e32 v252, 16, v77
	v_lshrrev_b32_e32 v107, 16, v79
	s_wait_loadcnt 0x1
	v_lshrrev_b32_e32 v0, 16, v153
	v_lshrrev_b32_e32 v254, 16, v78
	v_lshrrev_b32_e32 v255, 16, v80
	v_mul_f16_e64 v4, v3, v252
	v_mul_f16_e32 v10, v16, v107
	v_mul_f16_e32 v6, v5, v107
	;; [unrolled: 1-line block ×4, first 2 shown]
	v_fma_f16 v7, v175, v77, -v4
	v_mul_f16_e64 v4, v175, v252
	v_fmac_f16_e32 v10, v5, v79
	v_lshrrev_b32_e32 v0, 16, v155
	v_fma_f16 v17, v14, v153, -v9
	v_fmac_f16_e64 v89, v8, v153
	v_fmac_f16_e32 v4, v3, v77
	v_mul_lo_u16 v3, 0x89, v12
	v_mul_f16_e64 v179, v18, v0
	v_mul_f16_e32 v14, v13, v0
	v_lshrrev_b32_e32 v8, 16, v173
	v_fma_f16 v19, v16, v79, -v6
	v_lshrrev_b16 v49, 12, v3
	v_fmac_f16_e64 v179, v13, v155
	v_fma_f16 v177, v18, v155, -v14
	s_delay_alu instid0(VALU_DEP_3) | instskip(NEXT) | instid1(VALU_DEP_3)
	v_mul_lo_u16 v5, v49, 30
	v_sub_f16_e64 v23, v89, v179
	s_delay_alu instid0(VALU_DEP_3) | instskip(NEXT) | instid1(VALU_DEP_3)
	v_sub_f16_e64 v24, v17, v177
	v_sub_nc_u16 v5, v71, v5
	s_delay_alu instid0(VALU_DEP_1) | instskip(NEXT) | instid1(VALU_DEP_1)
	v_and_b32_e32 v48, 0xff, v5
	v_mad_co_u64_u32 v[12:13], null, v48, 36, s[6:7]
	global_load_b128 v[114:117], v[12:13], off offset:108
	s_wait_loadcnt 0x1
	v_lshrrev_b32_e32 v0, 16, v211
	s_delay_alu instid0(VALU_DEP_1) | instskip(SKIP_1) | instid1(VALU_DEP_2)
	v_mul_f16_e32 v14, v8, v0
	v_mul_f16_e64 v188, v173, v0
	v_fma_f16 v185, v173, v211, -v14
	s_delay_alu instid0(VALU_DEP_2) | instskip(SKIP_1) | instid1(VALU_DEP_3)
	v_fmac_f16_e64 v188, v8, v211
	v_lshrrev_b32_e32 v8, 16, v183
	v_sub_f16_e64 v178, v185, v177
	s_delay_alu instid0(VALU_DEP_3)
	v_sub_f16_e64 v172, v188, v179
	s_wait_loadcnt 0x0
	v_lshrrev_b32_e32 v0, 16, v114
	v_lshrrev_b32_e32 v151, 16, v115
	;; [unrolled: 1-line block ×4, first 2 shown]
	s_delay_alu instid0(VALU_DEP_4) | instskip(SKIP_1) | instid1(VALU_DEP_2)
	v_mul_f16_e32 v14, v94, v0
	v_mul_f16_e64 v191, v176, v0
	v_fma_f16 v190, v176, v114, -v14
	ds_load_2addr_b32 v[14:15], v157 offset0:28 offset1:118
	v_fmac_f16_e64 v191, v94, v114
	s_wait_dscnt 0x0
	v_lshrrev_b32_e32 v104, 16, v14
	v_mul_f16_e64 v196, v14, v254
	v_mul_f16_e64 v202, v15, v151
	s_delay_alu instid0(VALU_DEP_2) | instskip(SKIP_1) | instid1(VALU_DEP_1)
	v_fmac_f16_e64 v196, v104, v78
	v_mul_f16_e64 v104, v104, v254
	v_fma_f16 v199, v14, v78, -v104
	v_lshrrev_b32_e32 v104, 16, v15
	s_delay_alu instid0(VALU_DEP_1) | instskip(SKIP_1) | instid1(VALU_DEP_2)
	v_mul_f16_e64 v14, v104, v151
	v_fmac_f16_e64 v202, v104, v115
	v_fma_f16 v201, v15, v115, -v14
	v_mul_f16_e64 v14, v152, v219
	s_delay_alu instid0(VALU_DEP_1) | instskip(SKIP_3) | instid1(VALU_DEP_2)
	v_fma_f16 v203, v187, v116, -v14
	ds_load_2addr_b32 v[14:15], v241 offset0:56 offset1:146
	v_mul_f16_e64 v187, v187, v219
	v_add_f16_e64 v240, v190, v203
	v_fmac_f16_e64 v187, v152, v116
	s_delay_alu instid0(VALU_DEP_1) | instskip(SKIP_4) | instid1(VALU_DEP_2)
	v_add_f16_e64 v245, v191, v187
	s_wait_dscnt 0x0
	v_lshrrev_b32_e32 v173, 16, v14
	v_mul_f16_e64 v204, v14, v255
	v_mul_f16_e64 v207, v15, v103
	v_fmac_f16_e64 v204, v173, v80
	v_mul_f16_e64 v173, v173, v255
	s_delay_alu instid0(VALU_DEP_1) | instskip(SKIP_1) | instid1(VALU_DEP_1)
	v_fma_f16 v205, v14, v80, -v173
	v_lshrrev_b32_e32 v14, 16, v15
	v_mul_f16_e64 v173, v14, v103
	v_fmac_f16_e64 v207, v14, v117
	v_sub_f16_e64 v14, v10, v188
	s_delay_alu instid0(VALU_DEP_3)
	v_fma_f16 v206, v15, v117, -v173
	s_clause 0x1
	global_load_b32 v173, v[12:13], off offset:140
	global_load_b128 v[135:138], v[12:13], off offset:124
	ds_load_2addr_b32 v[174:175], v92 offset0:84 offset1:174
	v_add_f16_e64 v15, v89, v179
	s_delay_alu instid0(VALU_DEP_1)
	v_fma_f16 v15, -0.5, v15, v4
	s_wait_dscnt 0x0
	v_lshrrev_b32_e32 v176, 16, v175
	s_wait_loadcnt 0x0
	v_lshrrev_b32_e32 v0, 16, v135
	v_lshrrev_b32_e32 v104, 16, v138
	s_delay_alu instid0(VALU_DEP_2) | instskip(NEXT) | instid1(VALU_DEP_1)
	v_mul_f16_e32 v94, v8, v0
	v_fma_f16 v208, v183, v135, -v94
	v_mul_f16_e64 v183, v183, v0
	v_lshrrev_b32_e32 v0, 16, v154
	v_lshrrev_b32_e32 v94, 16, v174
	s_delay_alu instid0(VALU_DEP_3) | instskip(NEXT) | instid1(VALU_DEP_3)
	v_fmac_f16_e64 v183, v8, v135
	v_mul_f16_e64 v210, v174, v0
	s_delay_alu instid0(VALU_DEP_1) | instskip(SKIP_2) | instid1(VALU_DEP_3)
	v_fmac_f16_e64 v210, v94, v154
	v_mul_f16_e32 v94, v94, v0
	v_lshrrev_b32_e32 v0, 16, v136
	v_add_f16_e64 v170, v204, v210
	s_delay_alu instid0(VALU_DEP_3) | instskip(NEXT) | instid1(VALU_DEP_3)
	v_fma_f16 v214, v174, v154, -v94
	v_mul_f16_e64 v152, v176, v0
	v_mul_f16_e64 v216, v175, v0
	v_lshrrev_b32_e32 v94, 16, v156
	v_lshrrev_b32_e32 v0, 16, v173
	v_add_f16_e64 v16, v205, v214
	v_fma_f16 v215, v175, v136, -v152
	v_lshrrev_b32_e32 v152, 16, v137
	v_fmac_f16_e64 v216, v176, v136
	v_sub_f16_e64 v13, v204, v210
	v_sub_f16_e64 v11, v205, v214
	v_add_f16_e64 v8, v206, v215
	v_mul_f16_e64 v174, v217, v152
	s_delay_alu instid0(VALU_DEP_1) | instskip(SKIP_3) | instid1(VALU_DEP_2)
	v_fma_f16 v218, v184, v137, -v174
	ds_load_2addr_b32 v[174:175], v251 offset0:112 offset1:202
	v_mul_f16_e64 v184, v184, v152
	v_sub_f16_e64 v30, v208, v218
	v_fmac_f16_e64 v184, v217, v137
	s_delay_alu instid0(VALU_DEP_1)
	v_sub_f16_e64 v249, v183, v184
	s_wait_dscnt 0x0
	v_lshrrev_b32_e32 v220, 16, v174
	v_mul_f16_e64 v221, v174, v94
	v_lshrrev_b32_e32 v222, 16, v175
	v_mul_f16_e64 v224, v175, v104
	s_delay_alu instid0(VALU_DEP_3) | instskip(SKIP_1) | instid1(VALU_DEP_3)
	v_fmac_f16_e64 v221, v220, v156
	v_mul_f16_e64 v220, v220, v94
	v_fmac_f16_e64 v224, v222, v138
	s_delay_alu instid0(VALU_DEP_3) | instskip(NEXT) | instid1(VALU_DEP_3)
	v_sub_f16_e64 v181, v221, v210
	v_fma_f16 v220, v174, v156, -v220
	v_mul_f16_e64 v174, v222, v104
	s_delay_alu instid0(VALU_DEP_4) | instskip(NEXT) | instid1(VALU_DEP_3)
	v_sub_f16_e64 v28, v202, v224
	v_sub_f16_e64 v142, v220, v214
	s_delay_alu instid0(VALU_DEP_3)
	v_fma_f16 v223, v175, v138, -v174
	v_lshrrev_b32_e32 v175, 16, v189
	v_add_f16_e64 v162, v199, v220
	v_add_f16_e64 v174, v4, v10
	v_sub_f16_e64 v9, v199, v220
	v_add_f16_e64 v217, v201, v223
	v_mul_f16_e64 v225, v175, v0
	v_sub_f16_e64 v227, v215, v223
	v_add_f16_e64 v174, v174, v89
	s_delay_alu instid0(VALU_DEP_3) | instskip(SKIP_1) | instid1(VALU_DEP_3)
	v_fma_f16 v225, v189, v173, -v225
	v_mul_f16_e64 v189, v189, v0
	v_add_f16_e64 v174, v174, v179
	s_delay_alu instid0(VALU_DEP_3) | instskip(NEXT) | instid1(VALU_DEP_3)
	v_add_f16_e64 v239, v203, v225
	v_fmac_f16_e64 v189, v175, v173
	ds_load_2addr_b32 v[175:176], v158 offset1:90
	v_sub_f16_e64 v242, v218, v225
	v_sub_f16_e64 v25, v203, v225
	v_add_f16_e64 v174, v174, v188
	v_add_f16_e64 v243, v187, v189
	v_sub_f16_e64 v246, v184, v189
	v_sub_f16_e64 v29, v187, v189
	global_wb scope:SCOPE_SE
	s_wait_dscnt 0x0
	s_barrier_signal -1
	s_barrier_wait -1
	global_inv scope:SCOPE_SE
	v_fma_f16 v8, -0.5, v8, v176
	v_lshrrev_b32_e32 v222, 16, v176
	v_add_f16_e64 v226, v176, v201
	v_fmac_f16_e64 v176, -0.5, v217
	v_sub_f16_e64 v217, v206, v201
	v_fma_f16 v16, -0.5, v16, v175
	v_fma_f16 v162, -0.5, v162, v175
	v_lshrrev_b32_e32 v0, 16, v175
	v_add_f16_e64 v175, v175, v199
	v_add_f16_e64 v217, v217, v227
	;; [unrolled: 1-line block ×3, first 2 shown]
	s_delay_alu instid0(VALU_DEP_4) | instskip(NEXT) | instid1(VALU_DEP_2)
	v_fma_f16 v170, -0.5, v170, v0
	v_fma_f16 v227, -0.5, v227, v190
	v_fmac_f16_e64 v190, -0.5, v239
	v_sub_f16_e64 v239, v208, v203
	s_delay_alu instid0(VALU_DEP_4) | instskip(SKIP_1) | instid1(VALU_DEP_4)
	v_fma_f16 v2, 0xbb9c, v9, v170
	v_fmac_f16_e64 v170, 0x3b9c, v9
	v_fma_f16 v253, 0xbb9c, v249, v190
	s_delay_alu instid0(VALU_DEP_4)
	v_add_f16_e64 v239, v239, v242
	v_add_f16_e64 v242, v183, v184
	v_fmac_f16_e64 v190, 0x3b9c, v249
	v_fmac_f16_e32 v2, 0xb8b4, v11
	v_fmac_f16_e64 v170, 0x38b4, v11
	v_fmac_f16_e64 v253, 0x38b4, v29
	v_fma_f16 v242, -0.5, v242, v191
	v_fmac_f16_e64 v191, -0.5, v243
	v_sub_f16_e64 v243, v183, v187
	v_fmac_f16_e64 v190, 0xb8b4, v29
	v_fmac_f16_e64 v253, 0x34f2, v239
	s_delay_alu instid0(VALU_DEP_4) | instskip(NEXT) | instid1(VALU_DEP_4)
	v_fma_f16 v12, 0x3b9c, v30, v191
	v_add_f16_e64 v243, v243, v246
	v_sub_f16_e64 v246, v207, v216
	v_fmac_f16_e64 v191, 0xbb9c, v30
	v_fmac_f16_e64 v190, 0x34f2, v239
	v_fmac_f16_e32 v12, 0xb8b4, v25
	s_delay_alu instid0(VALU_DEP_4)
	v_fma_f16 v247, 0xbb9c, v246, v176
	v_fmac_f16_e64 v176, 0x3b9c, v246
	v_fmac_f16_e64 v191, 0x38b4, v25
	v_mul_f16_e64 v18, 0xb4f2, v190
	v_fmac_f16_e64 v12, 0x34f2, v243
	v_fmac_f16_e64 v247, 0x38b4, v28
	;; [unrolled: 1-line block ×4, first 2 shown]
	s_delay_alu instid0(VALU_DEP_3) | instskip(NEXT) | instid1(VALU_DEP_3)
	v_fmac_f16_e64 v247, 0x34f2, v217
	v_fmac_f16_e64 v176, 0x34f2, v217
	s_delay_alu instid0(VALU_DEP_3) | instskip(NEXT) | instid1(VALU_DEP_1)
	v_fmac_f16_e64 v18, 0x3b9c, v191
	v_add_f16_e64 v54, v176, v18
	v_sub_f16_e64 v31, v176, v18
	v_sub_f16_e64 v176, v199, v205
	;; [unrolled: 1-line block ×3, first 2 shown]
	s_delay_alu instid0(VALU_DEP_2) | instskip(SKIP_1) | instid1(VALU_DEP_1)
	v_add_f16_e64 v142, v176, v142
	v_sub_f16_e64 v176, v196, v204
	v_add_f16_e64 v181, v176, v181
	v_sub_f16_e64 v176, v19, v17
	s_delay_alu instid0(VALU_DEP_2) | instskip(NEXT) | instid1(VALU_DEP_2)
	v_fmac_f16_e64 v2, 0x34f2, v181
	v_add_f16_e64 v178, v176, v178
	v_sub_f16_e64 v176, v10, v89
	v_fmac_f16_e64 v170, 0x34f2, v181
	v_mov_b32_e32 v181, v97
	s_delay_alu instid0(VALU_DEP_3) | instskip(SKIP_1) | instid1(VALU_DEP_1)
	v_add_f16_e64 v172, v176, v172
	v_add_f16_e64 v176, v17, v177
	v_fma_f16 v1, -0.5, v176, v7
	v_fma_f16 v176, 0xbb9c, v18, v15
	v_fmac_f16_e32 v15, 0x3b9c, v18
	s_delay_alu instid0(VALU_DEP_3) | instskip(NEXT) | instid1(VALU_DEP_3)
	v_fmamk_f16 v22, v14, 0x3b9c, v1
	v_fmac_f16_e64 v176, 0xb8b4, v24
	v_fmac_f16_e32 v1, 0xbb9c, v14
	s_delay_alu instid0(VALU_DEP_4) | instskip(NEXT) | instid1(VALU_DEP_4)
	v_fmac_f16_e32 v15, 0x38b4, v24
	v_fmac_f16_e32 v22, 0x38b4, v23
	s_delay_alu instid0(VALU_DEP_4) | instskip(NEXT) | instid1(VALU_DEP_4)
	v_fmac_f16_e64 v176, 0x34f2, v172
	v_fmac_f16_e32 v1, 0xb8b4, v23
	s_delay_alu instid0(VALU_DEP_4) | instskip(SKIP_4) | instid1(VALU_DEP_2)
	v_fmac_f16_e64 v15, 0x34f2, v172
	v_mov_b32_e32 v172, v92
	v_fmac_f16_e64 v22, 0x34f2, v178
	v_mul_f16_e64 v6, 0x38b4, v176
	v_fmac_f16_e64 v1, 0x34f2, v178
	v_fmac_f16_e32 v6, 0x3a79, v22
	v_mul_f16_e32 v22, 0xb8b4, v22
	s_delay_alu instid0(VALU_DEP_1)
	v_fmac_f16_e64 v22, 0x3a79, v176
	v_add_lshl_u32 v176, v21, v20, 2
	v_add_f16_e64 v20, v175, v205
	v_add_f16_e64 v21, v0, v196
	;; [unrolled: 1-line block ×4, first 2 shown]
	v_sub_f16_e32 v2, v2, v22
	v_add_f16_e64 v20, v20, v214
	v_add_f16_e64 v21, v21, v204
	v_add_f16_e64 v175, v175, v17
	s_delay_alu instid0(VALU_DEP_3) | instskip(NEXT) | instid1(VALU_DEP_3)
	v_add_f16_e64 v20, v20, v220
	v_add_f16_e64 v21, v21, v210
	s_delay_alu instid0(VALU_DEP_3) | instskip(NEXT) | instid1(VALU_DEP_2)
	v_add_f16_e64 v175, v175, v177
	v_add_f16_e64 v21, v21, v221
	s_delay_alu instid0(VALU_DEP_2) | instskip(NEXT) | instid1(VALU_DEP_2)
	v_add_f16_e64 v175, v175, v185
	v_add_f16_e64 v26, v21, v174
	s_delay_alu instid0(VALU_DEP_2) | instskip(NEXT) | instid1(VALU_DEP_1)
	v_add_f16_e64 v3, v20, v175
	v_pack_b32_f16 v3, v3, v26
	v_sub_f16_e64 v26, v196, v221
	s_delay_alu instid0(VALU_DEP_1) | instskip(SKIP_1) | instid1(VALU_DEP_2)
	v_fmamk_f16 v27, v26, 0x3b9c, v16
	v_fmac_f16_e32 v16, 0xbb9c, v26
	v_fmac_f16_e32 v27, 0x38b4, v13
	s_delay_alu instid0(VALU_DEP_2) | instskip(NEXT) | instid1(VALU_DEP_2)
	v_fmac_f16_e32 v16, 0xb8b4, v13
	v_fmac_f16_e64 v27, 0x34f2, v142
	s_delay_alu instid0(VALU_DEP_2) | instskip(NEXT) | instid1(VALU_DEP_2)
	v_fmac_f16_e64 v16, 0x34f2, v142
	v_add_f16_e32 v5, v27, v6
	s_delay_alu instid0(VALU_DEP_1)
	v_pack_b32_f16 v5, v5, v200
	v_fma_f16 v200, 0xbb9c, v13, v162
	v_fmac_f16_e64 v162, 0x3b9c, v13
	ds_store_2addr_b32 v176, v3, v5 offset1:30
	v_sub_f16_e64 v3, v205, v199
	v_sub_f16_e64 v5, v214, v220
	;; [unrolled: 1-line block ×3, first 2 shown]
	v_fmac_f16_e64 v200, 0x38b4, v26
	v_fmac_f16_e64 v162, 0xb8b4, v26
	s_delay_alu instid0(VALU_DEP_4) | instskip(SKIP_2) | instid1(VALU_DEP_3)
	v_add_f16_e32 v3, v3, v5
	v_sub_f16_e64 v5, v204, v196
	v_add_f16_e64 v196, v196, v221
	v_fmac_f16_e64 v200, 0x34f2, v3
	v_fmac_f16_e64 v162, 0x34f2, v3
	s_delay_alu instid0(VALU_DEP_3)
	v_fmac_f16_e64 v0, -0.5, v196
	v_add_f16_e64 v3, v5, v199
	v_sub_f16_e32 v5, v17, v19
	v_add_f16_e64 v17, v19, v185
	v_sub_f16_e64 v19, v177, v185
	v_fma_f16 v177, 0x3b9c, v11, v0
	v_fmac_f16_e32 v0, 0xbb9c, v11
	v_sub_f16_e64 v11, v21, v174
	v_fmac_f16_e32 v7, -0.5, v17
	v_mov_b32_e32 v174, v96
	v_fmac_f16_e64 v177, 0xb8b4, v9
	v_fmac_f16_e32 v0, 0x38b4, v9
	v_mul_f16_e32 v9, 0xba79, v15
	v_fmamk_f16 v17, v23, 0xbb9c, v7
	v_fmac_f16_e32 v7, 0x3b9c, v23
	v_fmac_f16_e64 v177, 0x34f2, v3
	v_fmac_f16_e32 v0, 0x34f2, v3
	v_add_f16_e32 v3, v5, v19
	v_add_f16_e64 v5, v10, v188
	v_fmac_f16_e32 v17, 0x38b4, v14
	v_fmac_f16_e32 v7, 0xb8b4, v14
	;; [unrolled: 1-line block ×3, first 2 shown]
	s_delay_alu instid0(VALU_DEP_4)
	v_fmac_f16_e32 v4, -0.5, v5
	v_sub_f16_e32 v5, v89, v10
	v_sub_f16_e64 v10, v179, v188
	v_fmac_f16_e32 v17, 0x34f2, v3
	v_fmac_f16_e32 v7, 0x34f2, v3
	v_add_f16_e64 v14, v170, v9
	s_delay_alu instid0(VALU_DEP_4) | instskip(SKIP_3) | instid1(VALU_DEP_3)
	v_add_f16_e32 v3, v5, v10
	v_fmamk_f16 v5, v24, 0x3b9c, v4
	v_fmac_f16_e32 v4, 0xbb9c, v24
	v_mul_f16_e32 v10, 0xbb9c, v17
	v_fmac_f16_e32 v5, 0xb8b4, v18
	s_delay_alu instid0(VALU_DEP_3) | instskip(NEXT) | instid1(VALU_DEP_2)
	v_fmac_f16_e32 v4, 0x38b4, v18
	v_fmac_f16_e32 v5, 0x34f2, v3
	s_delay_alu instid0(VALU_DEP_2) | instskip(NEXT) | instid1(VALU_DEP_2)
	v_fmac_f16_e32 v4, 0x34f2, v3
	v_mul_f16_e32 v3, 0x3b9c, v5
	v_fmac_f16_e32 v10, 0x34f2, v5
	v_mul_f16_e32 v5, 0xb4f2, v7
	s_delay_alu instid0(VALU_DEP_3) | instskip(NEXT) | instid1(VALU_DEP_3)
	v_fmac_f16_e32 v3, 0x34f2, v17
	v_add_f16_e64 v17, v177, v10
	s_delay_alu instid0(VALU_DEP_3) | instskip(SKIP_1) | instid1(VALU_DEP_1)
	v_fmac_f16_e32 v5, 0x3b9c, v4
	v_mul_f16_e32 v4, 0xb4f2, v4
	v_fmac_f16_e32 v4, 0xbb9c, v7
	v_add_f16_e64 v7, v200, v3
	v_sub_f16_e64 v3, v200, v3
	v_add_nc_u32_e32 v200, 0xe00, v158
	s_delay_alu instid0(VALU_DEP_4) | instskip(NEXT) | instid1(VALU_DEP_4)
	v_add_f16_e32 v19, v0, v4
	v_pack_b32_f16 v7, v7, v17
	v_add_f16_e64 v17, v162, v5
	v_sub_f16_e32 v0, v0, v4
	v_sub_f16_e64 v4, v202, v207
	s_delay_alu instid0(VALU_DEP_3) | instskip(SKIP_3) | instid1(VALU_DEP_2)
	v_pack_b32_f16 v17, v17, v19
	ds_store_2addr_b32 v176, v7, v17 offset0:60 offset1:90
	v_mul_f16_e32 v7, 0xba79, v1
	v_sub_f16_e64 v1, v20, v175
	v_fmac_f16_e32 v7, 0x38b4, v15
	s_delay_alu instid0(VALU_DEP_2) | instskip(SKIP_2) | instid1(VALU_DEP_4)
	v_pack_b32_f16 v1, v1, v11
	v_fma_f16 v11, 0x3b9c, v29, v227
	v_fmac_f16_e64 v227, 0xbb9c, v29
	v_add_f16_e32 v13, v16, v7
	s_delay_alu instid0(VALU_DEP_3) | instskip(NEXT) | instid1(VALU_DEP_3)
	v_fmac_f16_e64 v11, 0x38b4, v249
	v_fmac_f16_e64 v227, 0xb8b4, v249
	s_delay_alu instid0(VALU_DEP_3) | instskip(SKIP_4) | instid1(VALU_DEP_3)
	v_pack_b32_f16 v13, v13, v14
	ds_store_2addr_b32 v176, v13, v1 offset0:120 offset1:150
	v_sub_f16_e32 v1, v27, v6
	v_sub_f16_e64 v6, v177, v10
	v_sub_f16_e64 v10, v189, v184
	v_pack_b32_f16 v1, v1, v2
	s_delay_alu instid0(VALU_DEP_3)
	v_pack_b32_f16 v2, v3, v6
	v_sub_f16_e64 v3, v170, v9
	v_sub_f16_e64 v9, v187, v183
	;; [unrolled: 1-line block ×3, first 2 shown]
	v_mov_b32_e32 v170, v93
	ds_store_2addr_b32 v176, v1, v2 offset0:180 offset1:210
	v_sub_f16_e32 v2, v16, v7
	v_add_f16_e32 v9, v9, v10
	v_fma_f16 v10, 0xbb9c, v25, v242
	v_sub_f16_e64 v7, v225, v218
	v_sub_f16_e64 v1, v162, v5
	;; [unrolled: 1-line block ×3, first 2 shown]
	v_fmamk_f16 v16, v28, 0x3b9c, v8
	v_fmac_f16_e32 v10, 0xb8b4, v30
	v_add_f16_e32 v6, v6, v7
	v_pack_b32_f16 v0, v1, v0
	v_pack_b32_f16 v1, v2, v3
	v_add_nc_u32_e32 v2, 0x200, v176
	v_fmac_f16_e32 v10, 0x34f2, v9
	v_fmac_f16_e32 v11, 0x34f2, v6
	v_add_f16_e32 v4, v4, v5
	v_add_f16_e64 v5, v240, v208
	ds_store_2addr_b32 v2, v0, v1 offset0:112 offset1:142
	v_mul_f16_e32 v13, 0x38b4, v10
	v_sub_f16_e64 v0, v201, v206
	v_sub_f16_e64 v1, v223, v215
	v_add_f16_e64 v7, v245, v183
	v_add_f16_e64 v5, v5, v218
	v_fmac_f16_e32 v13, 0x3a79, v11
	v_mul_f16_e32 v11, 0xb8b4, v11
	v_add_f16_e32 v0, v0, v1
	v_add_f16_e64 v1, v226, v206
	v_add_f16_e64 v7, v7, v184
	;; [unrolled: 1-line block ×3, first 2 shown]
	v_fmac_f16_e32 v11, 0x3a79, v10
	v_and_b32_e32 v10, 0xffff, v49
	v_add_f16_e64 v1, v1, v215
	v_add_f16_e64 v7, v7, v189
	scratch_store_b32 off, v2, off offset:268 ; 4-byte Folded Spill
	v_sub_f16_e64 v2, v201, v223
	v_mul_u32_u24_e32 v10, 0x12c, v10
	v_add_f16_e64 v1, v1, v223
	v_sub_f16_e64 v3, v206, v215
	v_fmac_f16_e64 v16, 0x38b4, v246
	v_fmac_f16_e64 v242, 0x3b9c, v25
	v_add_lshl_u32 v177, v10, v48, 2
	v_add_f16_e64 v10, v222, v202
	v_add_f16_e32 v14, v1, v5
	v_fmac_f16_e32 v16, 0x34f2, v0
	v_fmac_f16_e32 v8, 0xbb9c, v28
	v_fmac_f16_e64 v242, 0x38b4, v30
	v_add_f16_e64 v10, v10, v207
	v_fmac_f16_e64 v227, 0x34f2, v6
	v_add_f16_e32 v18, v16, v13
	v_fmac_f16_e64 v8, 0xb8b4, v246
	v_fmac_f16_e64 v242, 0x34f2, v9
	v_add_f16_e64 v10, v10, v216
	v_sub_f16_e32 v1, v1, v5
	v_sub_f16_e64 v6, v133, v126
	v_fmac_f16_e32 v8, 0x34f2, v0
	v_mul_f16_e64 v0, 0xba79, v227
	v_add_f16_e64 v10, v10, v224
	v_sub_f16_e32 v9, v127, v125
	s_delay_alu instid0(VALU_DEP_3) | instskip(NEXT) | instid1(VALU_DEP_3)
	v_fmac_f16_e64 v0, 0x38b4, v242
	v_add_f16_e32 v15, v10, v7
	s_delay_alu instid0(VALU_DEP_1) | instskip(SKIP_1) | instid1(VALU_DEP_1)
	v_pack_b32_f16 v14, v14, v15
	v_add_f16_e64 v15, v207, v216
	v_fma_f16 v15, -0.5, v15, v222
	s_delay_alu instid0(VALU_DEP_1) | instskip(SKIP_1) | instid1(VALU_DEP_2)
	v_fmamk_f16 v17, v2, 0xbb9c, v15
	v_fmac_f16_e32 v15, 0x3b9c, v2
	v_fmac_f16_e32 v17, 0xb8b4, v3
	s_delay_alu instid0(VALU_DEP_2) | instskip(NEXT) | instid1(VALU_DEP_2)
	v_fmac_f16_e32 v15, 0x38b4, v3
	v_fmac_f16_e32 v17, 0x34f2, v4
	s_delay_alu instid0(VALU_DEP_2) | instskip(SKIP_4) | instid1(VALU_DEP_2)
	v_fmac_f16_e32 v15, 0x34f2, v4
	v_add_f16_e32 v4, v8, v0
	v_sub_f16_e32 v0, v8, v0
	v_sub_f16_e32 v8, v123, v87
	v_add_f16_e32 v19, v17, v11
	v_add_f16_e32 v8, v8, v9
	s_delay_alu instid0(VALU_DEP_2)
	v_pack_b32_f16 v18, v18, v19
	v_mul_f16_e64 v19, 0xbb9c, v253
	v_fmamk_f16 v9, v81, 0xbb9c, v63
	v_fmac_f16_e32 v63, 0x3b9c, v81
	v_lshlrev_b32_e32 v81, 3, v72
	ds_store_2addr_b32 v177, v14, v18 offset1:30
	v_add_f16_e64 v14, v202, v224
	v_sub_f16_e64 v18, v216, v224
	v_fmac_f16_e32 v19, 0x34f2, v12
	v_fmac_f16_e32 v9, 0xb8b4, v74
	;; [unrolled: 1-line block ×3, first 2 shown]
	v_fmac_f16_e64 v222, -0.5, v14
	v_sub_f16_e64 v14, v207, v202
	s_delay_alu instid0(VALU_DEP_4) | instskip(NEXT) | instid1(VALU_DEP_4)
	v_fmac_f16_e32 v9, 0x34f2, v8
	v_fmac_f16_e32 v63, 0x34f2, v8
	s_delay_alu instid0(VALU_DEP_3)
	v_add_f16_e32 v14, v14, v18
	v_fma_f16 v18, 0x3b9c, v3, v222
	v_fmac_f16_e64 v222, 0xbb9c, v3
	v_sub_f16_e32 v3, v10, v7
	v_sub_f16_e64 v7, v130, v106
	v_fmamk_f16 v10, v75, 0x3b9c, v61
	v_fmac_f16_e32 v18, 0xb8b4, v2
	v_fmac_f16_e64 v222, 0x38b4, v2
	v_mul_f16_e64 v2, 0xba79, v242
	v_pack_b32_f16 v1, v1, v3
	v_add_f16_e32 v6, v6, v7
	v_fmac_f16_e32 v18, 0x34f2, v14
	v_fmac_f16_e64 v222, 0x34f2, v14
	v_fmac_f16_e64 v2, 0xb8b4, v227
	v_mul_f16_e32 v14, 0x3b9c, v12
	v_mul_f16_e64 v12, 0xb4f2, v191
	v_add_f16_e32 v21, v18, v19
	v_add_f16_e64 v7, v198, v87
	v_add_f16_e32 v5, v15, v2
	v_fmac_f16_e64 v14, 0x34f2, v253
	v_fmac_f16_e64 v12, 0xbb9c, v190
	v_sub_f16_e32 v2, v15, v2
	v_add_f16_e32 v7, v7, v125
	v_pack_b32_f16 v4, v4, v5
	v_sub_f16_e64 v3, v247, v14
	v_sub_f16_e32 v5, v18, v19
	v_add_f16_e64 v20, v247, v14
	v_pack_b32_f16 v0, v0, v2
	ds_store_2addr_b32 v177, v4, v1 offset0:120 offset1:150
	v_sub_f16_e32 v1, v16, v13
	v_sub_f16_e32 v4, v17, v11
	v_pack_b32_f16 v3, v3, v5
	v_add_nc_u32_e32 v2, 0x200, v177
	v_pack_b32_f16 v20, v20, v21
	v_add_f16_e64 v21, v222, v12
	v_pack_b32_f16 v1, v1, v4
	v_sub_f16_e32 v4, v53, v52
	v_sub_f16_e32 v5, v59, v58
	v_add_f16_e32 v7, v7, v127
	scratch_store_b32 off, v2, off offset:264 ; 4-byte Folded Spill
	ds_store_2addr_b32 v177, v1, v3 offset0:180 offset1:210
	v_sub_f16_e64 v1, v222, v12
	v_add_f16_e32 v12, v51, v53
	v_add_f16_e32 v4, v4, v5
	v_add_f16_e64 v5, v134, v126
	v_fmac_f16_e32 v10, 0x38b4, v70
	v_pack_b32_f16 v1, v31, v1
	v_add_f16_e32 v12, v12, v52
	v_sub_f16_e32 v3, v67, v76
	v_add_f16_e32 v5, v5, v106
	v_fmac_f16_e32 v10, 0x34f2, v6
	ds_store_2addr_b32 v2, v1, v0 offset0:112 offset1:142
	v_sub_f16_e32 v0, v83, v67
	v_sub_f16_e32 v1, v84, v76
	v_add_f16_e32 v12, v12, v58
	v_add_f16_e64 v5, v5, v130
	v_sub_f16_e32 v2, v83, v84
	v_mul_f16_e32 v11, 0x38b4, v9
	v_add_f16_e32 v0, v0, v1
	v_add_f16_e32 v1, v95, v67
	;; [unrolled: 1-line block ×3, first 2 shown]
	v_fmamk_f16 v15, v73, 0x3b9c, v50
	v_fmac_f16_e32 v11, 0x3a79, v10
	v_mul_f16_e32 v10, 0xb8b4, v10
	v_add_f16_e32 v1, v1, v76
	v_add_f16_e32 v14, v12, v7
	v_fmac_f16_e32 v15, 0x38b4, v66
	v_pack_b32_f16 v21, v54, v21
	v_fmac_f16_e32 v10, 0x3a79, v9
	v_add_f16_e32 v1, v1, v84
	v_mad_u16 v9, 0x12c, v55, v57
	v_fmac_f16_e32 v15, 0x34f2, v0
	v_fmac_f16_e32 v61, 0xbb9c, v75
	ds_store_2addr_b32 v177, v20, v21 offset0:60 offset1:90
	v_add_f16_e32 v13, v1, v5
	v_and_b32_e32 v9, 0xffff, v9
	v_add_f16_e32 v17, v15, v11
	v_fmac_f16_e32 v50, 0xbb9c, v73
	v_fmac_f16_e32 v61, 0xb8b4, v70
	v_pack_b32_f16 v13, v13, v14
	v_add_f16_e32 v14, v52, v58
	v_lshlrev_b32_e32 v175, 2, v9
	v_add_f16_e32 v9, v53, v59
	v_fmac_f16_e32 v50, 0xb8b4, v66
	v_fmac_f16_e32 v61, 0x34f2, v6
	v_fma_f16 v14, -0.5, v14, v51
	v_sub_f16_e32 v1, v1, v5
	v_fmac_f16_e32 v51, -0.5, v9
	v_sub_f16_e32 v9, v52, v53
	v_fmac_f16_e32 v50, 0x34f2, v0
	v_fmamk_f16 v16, v2, 0xbb9c, v14
	v_fmac_f16_e32 v14, 0x3b9c, v2
	v_mul_f16_e32 v0, 0xba79, v61
	v_dual_mov_b32 v198, v98 :: v_dual_lshlrev_b32 v73, 3, v71
	s_delay_alu instid0(VALU_DEP_4) | instskip(NEXT) | instid1(VALU_DEP_4)
	v_fmac_f16_e32 v16, 0xb8b4, v3
	v_fmac_f16_e32 v14, 0x38b4, v3
	s_delay_alu instid0(VALU_DEP_4) | instskip(NEXT) | instid1(VALU_DEP_3)
	v_fmac_f16_e32 v0, 0x38b4, v63
	v_fmac_f16_e32 v16, 0x34f2, v4
	s_delay_alu instid0(VALU_DEP_3) | instskip(NEXT) | instid1(VALU_DEP_3)
	v_fmac_f16_e32 v14, 0x34f2, v4
	v_add_f16_e32 v4, v50, v0
	v_sub_f16_e32 v0, v50, v0
	s_delay_alu instid0(VALU_DEP_4) | instskip(NEXT) | instid1(VALU_DEP_1)
	v_add_f16_e32 v18, v16, v10
	v_pack_b32_f16 v17, v17, v18
	v_mul_f16_e32 v18, 0xb4f2, v60
	ds_store_2addr_b32 v175, v13, v17 offset1:30
	v_sub_f16_e32 v13, v58, v59
	v_mul_f16_e32 v17, 0xbb9c, v86
	v_fmac_f16_e32 v18, 0xbb9c, v65
	s_delay_alu instid0(VALU_DEP_3) | instskip(SKIP_4) | instid1(VALU_DEP_4)
	v_add_f16_e32 v9, v9, v13
	v_fmamk_f16 v13, v3, 0x3b9c, v51
	v_fmac_f16_e32 v51, 0xbb9c, v3
	v_sub_f16_e32 v3, v12, v7
	v_fmac_f16_e32 v17, 0x34f2, v88
	v_fmac_f16_e32 v13, 0xb8b4, v2
	s_delay_alu instid0(VALU_DEP_4) | instskip(SKIP_2) | instid1(VALU_DEP_4)
	v_fmac_f16_e32 v51, 0x38b4, v2
	v_mul_f16_e32 v2, 0xba79, v63
	v_pack_b32_f16 v1, v1, v3
	v_fmac_f16_e32 v13, 0x34f2, v9
	s_delay_alu instid0(VALU_DEP_4) | instskip(NEXT) | instid1(VALU_DEP_4)
	v_fmac_f16_e32 v51, 0x34f2, v9
	v_fmac_f16_e32 v2, 0xb8b4, v61
	v_mul_f16_e32 v9, 0x3b9c, v88
	s_delay_alu instid0(VALU_DEP_4) | instskip(NEXT) | instid1(VALU_DEP_3)
	v_add_f16_e32 v20, v13, v17
	v_add_f16_e32 v5, v14, v2
	s_delay_alu instid0(VALU_DEP_3) | instskip(SKIP_1) | instid1(VALU_DEP_3)
	v_fmac_f16_e32 v9, 0x34f2, v86
	v_sub_f16_e32 v2, v14, v2
	v_pack_b32_f16 v4, v4, v5
	s_delay_alu instid0(VALU_DEP_3) | instskip(SKIP_1) | instid1(VALU_DEP_4)
	v_sub_f16_e32 v3, v64, v9
	v_sub_f16_e32 v5, v13, v17
	v_pack_b32_f16 v0, v0, v2
	v_add_nc_u32_e32 v2, 0x200, v175
	ds_store_2addr_b32 v175, v4, v1 offset0:120 offset1:150
	v_sub_f16_e32 v1, v15, v11
	v_sub_f16_e32 v4, v16, v10
	v_pack_b32_f16 v3, v3, v5
	v_add_f16_e32 v19, v64, v9
	scratch_store_b32 off, v2, off offset:260 ; 4-byte Folded Spill
	v_pack_b32_f16 v1, v1, v4
	v_pack_b32_f16 v19, v19, v20
	v_add_f16_e32 v20, v51, v18
	ds_store_2addr_b32 v175, v1, v3 offset0:180 offset1:210
	v_sub_f16_e32 v1, v51, v18
	v_pack_b32_f16 v20, v124, v20
	s_delay_alu instid0(VALU_DEP_2)
	v_pack_b32_f16 v1, v68, v1
	ds_store_2addr_b32 v175, v19, v20 offset0:60 offset1:90
	ds_store_2addr_b32 v2, v1, v0 offset0:112 offset1:142
	v_add_co_u32 v0, s2, 0xffffffe2, v120
	s_wait_alu 0xf1ff
	v_add_co_ci_u32_e64 v1, null, 0, -1, s2
	global_wb scope:SCOPE_SE
	s_wait_storecnt_dscnt 0x0
	v_cndmask_b32_e32 v69, v0, v100, vcc_lo
	s_barrier_signal -1
	v_cndmask_b32_e32 v70, v1, v56, vcc_lo
	s_barrier_wait -1
	global_inv scope:SCOPE_SE
	v_lshlrev_b64_e32 v[49:50], 3, v[69:70]
	v_lshlrev_b32_e32 v70, 3, v120
	s_delay_alu instid0(VALU_DEP_2) | instskip(SKIP_1) | instid1(VALU_DEP_3)
	v_add_co_u32 v65, vcc_lo, s6, v49
	s_wait_alu 0xfffd
	v_add_co_ci_u32_e32 v66, vcc_lo, s7, v50, vcc_lo
	s_clause 0x3
	global_load_b64 v[49:50], v70, s[6:7] offset:1188
	global_load_b64 v[53:54], v70, s[6:7] offset:1668
	;; [unrolled: 1-line block ×4, first 2 shown]
	ds_load_2addr_b32 v[57:58], v250 offset0:132 offset1:222
	ds_load_2addr_b32 v[74:75], v158 offset1:90
	v_cmp_lt_u16_e32 vcc_lo, 29, v91
	v_add_nc_u32_e32 v91, 0x2200, v158
	s_wait_dscnt 0x1
	v_lshrrev_b32_e32 v0, 16, v57
	s_wait_dscnt 0x0
	v_lshrrev_b32_e32 v10, 16, v74
	v_lshrrev_b32_e32 v2, 16, v58
	s_wait_loadcnt 0x3
	v_lshrrev_b32_e32 v189, 16, v49
	v_lshrrev_b32_e32 v191, 16, v50
	s_wait_loadcnt 0x2
	v_lshrrev_b32_e32 v205, 16, v53
	s_wait_loadcnt 0x0
	v_lshrrev_b32_e32 v188, 16, v61
	v_lshrrev_b32_e32 v190, 16, v62
	v_mul_f16_e64 v1, v57, v189
	v_lshrrev_b32_e32 v206, 16, v54
	v_lshrrev_b32_e32 v203, 16, v51
	v_mul_f16_e64 v3, v2, v188
	v_mul_f16_e64 v4, v58, v188
	v_fmac_f16_e32 v1, v0, v49
	v_mul_f16_e64 v0, v0, v189
	v_lshrrev_b32_e32 v204, 16, v52
	v_fma_f16 v3, v58, v61, -v3
	v_fmac_f16_e32 v4, v2, v61
	v_add_f16_e32 v12, v10, v1
	v_fma_f16 v0, v57, v49, -v0
	ds_load_2addr_b32 v[56:57], v163 offset0:8 offset1:98
	s_wait_dscnt 0x0
	v_lshrrev_b32_e32 v5, 16, v56
	v_mul_f16_e64 v6, v56, v191
	v_lshrrev_b32_e32 v7, 16, v57
	v_mul_f16_e64 v9, v57, v190
	s_delay_alu instid0(VALU_DEP_3) | instskip(SKIP_1) | instid1(VALU_DEP_4)
	v_fmac_f16_e32 v6, v5, v50
	v_mul_f16_e64 v5, v5, v191
	v_mul_f16_e64 v8, v7, v190
	s_delay_alu instid0(VALU_DEP_4) | instskip(NEXT) | instid1(VALU_DEP_4)
	v_fmac_f16_e32 v9, v7, v62
	v_add_f16_e32 v11, v1, v6
	s_delay_alu instid0(VALU_DEP_4) | instskip(SKIP_2) | instid1(VALU_DEP_4)
	v_fma_f16 v5, v56, v50, -v5
	v_sub_f16_e32 v1, v1, v6
	v_fma_f16 v8, v57, v62, -v8
	v_fmac_f16_e32 v10, -0.5, v11
	v_add_f16_e32 v11, v74, v0
	v_add_f16_e32 v13, v0, v5
	v_sub_f16_e32 v0, v0, v5
	s_delay_alu instid0(VALU_DEP_3) | instskip(NEXT) | instid1(VALU_DEP_3)
	v_add_f16_e32 v11, v11, v5
	v_fma_f16 v5, -0.5, v13, v74
	s_delay_alu instid0(VALU_DEP_1) | instskip(SKIP_4) | instid1(VALU_DEP_3)
	v_fmamk_f16 v13, v1, 0x3aee, v5
	v_fmac_f16_e32 v5, 0xbaee, v1
	v_add_f16_e32 v1, v12, v6
	v_fmamk_f16 v6, v0, 0xbaee, v10
	v_fmac_f16_e32 v10, 0x3aee, v0
	v_pack_b32_f16 v0, v11, v1
	s_delay_alu instid0(VALU_DEP_3) | instskip(SKIP_1) | instid1(VALU_DEP_4)
	v_pack_b32_f16 v1, v13, v6
	v_lshrrev_b32_e32 v6, 16, v75
	v_pack_b32_f16 v2, v5, v10
	v_add_f16_e32 v5, v75, v3
	v_lshrrev_b16 v10, 2, v229
	v_lshrrev_b16 v11, 2, v85
	v_add_f16_e32 v7, v6, v4
	v_lshrrev_b16 v13, 2, v90
	v_add_f16_e32 v5, v5, v8
	v_and_b32_e32 v10, 0xffff, v10
	v_and_b32_e32 v11, 0xffff, v11
	v_add_f16_e32 v7, v7, v9
	v_and_b32_e32 v13, 0xffff, v13
	s_delay_alu instid0(VALU_DEP_4) | instskip(NEXT) | instid1(VALU_DEP_4)
	v_mul_u32_u24_e32 v10, 0x6d3b, v10
	v_mul_u32_u24_e32 v11, 0x6d3b, v11
	s_delay_alu instid0(VALU_DEP_4) | instskip(SKIP_4) | instid1(VALU_DEP_4)
	v_pack_b32_f16 v5, v5, v7
	v_lshrrev_b16 v7, 2, v212
	v_mul_u32_u24_e32 v13, 0x6d3b, v13
	v_lshrrev_b32_e32 v10, 21, v10
	v_lshrrev_b32_e32 v11, 21, v11
	v_and_b32_e32 v7, 0xffff, v7
	s_delay_alu instid0(VALU_DEP_4) | instskip(NEXT) | instid1(VALU_DEP_4)
	v_lshrrev_b32_e32 v13, 21, v13
	v_mul_lo_u16 v12, 0x12c, v10
	s_delay_alu instid0(VALU_DEP_4) | instskip(NEXT) | instid1(VALU_DEP_4)
	v_mul_lo_u16 v11, 0x12c, v11
	v_mul_u32_u24_e32 v7, 0x6d3b, v7
	s_delay_alu instid0(VALU_DEP_4) | instskip(NEXT) | instid1(VALU_DEP_4)
	v_mul_lo_u16 v13, 0x12c, v13
	v_sub_nc_u16 v12, v229, v12
	s_delay_alu instid0(VALU_DEP_4) | instskip(NEXT) | instid1(VALU_DEP_4)
	v_sub_nc_u16 v11, v85, v11
	v_lshrrev_b32_e32 v7, 21, v7
	s_delay_alu instid0(VALU_DEP_4) | instskip(NEXT) | instid1(VALU_DEP_4)
	v_sub_nc_u16 v13, v90, v13
	v_lshlrev_b16 v14, 3, v12
	v_mad_u16 v10, 0x384, v10, v12
	s_delay_alu instid0(VALU_DEP_4) | instskip(NEXT) | instid1(VALU_DEP_3)
	v_mul_lo_u16 v7, 0x12c, v7
	v_and_b32_e32 v14, 0xffff, v14
	s_delay_alu instid0(VALU_DEP_2) | instskip(NEXT) | instid1(VALU_DEP_2)
	v_sub_nc_u16 v7, v212, v7
	v_add_co_u32 v56, s2, s6, v14
	v_lshlrev_b16 v14, 3, v11
	s_delay_alu instid0(VALU_DEP_3)
	v_lshlrev_b16 v15, 3, v7
	s_wait_alu 0xf1ff
	v_add_co_ci_u32_e64 v57, null, s7, 0, s2
	v_and_b32_e32 v7, 0xffff, v7
	v_and_b32_e32 v14, 0xffff, v14
	;; [unrolled: 1-line block ×3, first 2 shown]
	s_delay_alu instid0(VALU_DEP_3) | instskip(NEXT) | instid1(VALU_DEP_2)
	v_lshlrev_b32_e32 v185, 2, v7
	v_add_co_u32 v58, s2, s6, v15
	v_lshlrev_b16 v15, 3, v13
	s_wait_alu 0xf1ff
	v_add_co_ci_u32_e64 v59, null, s7, 0, s2
	v_add_co_u32 v67, s2, s6, v14
	s_delay_alu instid0(VALU_DEP_3) | instskip(SKIP_2) | instid1(VALU_DEP_2)
	v_and_b32_e32 v15, 0xffff, v15
	s_wait_alu 0xf1ff
	v_add_co_ci_u32_e64 v68, null, s7, 0, s2
	v_add_co_u32 v82, s2, s6, v15
	s_wait_alu 0xf1ff
	v_add_co_ci_u32_e64 v83, null, s7, 0, s2
	s_clause 0x5
	global_load_b64 v[63:64], v[56:57], off offset:1188
	global_load_b64 v[59:60], v[58:59], off offset:1188
	;; [unrolled: 1-line block ×5, first 2 shown]
	global_load_b64 v[67:68], v81, s[6:7] offset:1188
	ds_load_2addr_b32 v[82:83], v238 offset0:52 offset1:142
	ds_load_2addr_b32 v[86:87], v241 offset0:56 offset1:146
	;; [unrolled: 1-line block ×12, first 2 shown]
	global_wb scope:SCOPE_SE
	s_wait_loadcnt_dscnt 0x0
	s_barrier_signal -1
	s_barrier_wait -1
	global_inv scope:SCOPE_SE
	ds_store_b32 v158, v1 offset:1200
	ds_store_b32 v158, v2 offset:2400
	ds_store_2addr_b32 v158, v0, v5 offset1:90
	v_add_f16_e32 v0, v3, v8
	v_sub_f16_e32 v1, v4, v9
	s_add_nc_u64 s[2:3], s[4:5], 0x2a30
	s_delay_alu instid0(VALU_DEP_2)
	v_fmac_f16_e32 v75, -0.5, v0
	v_add_f16_e32 v0, v4, v9
	v_lshrrev_b32_e32 v5, 16, v123
	v_mul_f16_e64 v16, v133, v205
	v_lshrrev_b32_e32 v18, 16, v183
	v_fmamk_f16 v2, v1, 0x3aee, v75
	v_fmac_f16_e32 v6, -0.5, v0
	v_sub_f16_e32 v0, v3, v8
	v_fmac_f16_e32 v75, 0xbaee, v1
	v_lshrrev_b32_e32 v3, 16, v86
	v_lshrrev_b32_e32 v8, 16, v82
	v_mul_f16_e64 v19, v18, v206
	v_fmamk_f16 v1, v0, 0xbaee, v6
	v_fmac_f16_e32 v6, 0x3aee, v0
	v_mul_f16_e64 v22, v183, v206
	v_mul_f16_e64 v17, v134, v203
	v_fma_f16 v19, v183, v54, -v19
	v_pack_b32_f16 v1, v2, v1
	v_pack_b32_f16 v0, v75, v6
	v_lshrrev_b32_e32 v20, 16, v184
	v_fmac_f16_e32 v22, v18, v54
	v_mul_f16_e64 v23, v184, v204
	s_delay_alu instid0(VALU_DEP_3) | instskip(NEXT) | instid1(VALU_DEP_2)
	v_mul_f16_e64 v21, v20, v204
	v_fmac_f16_e32 v23, v20, v52
	v_lshrrev_b32_e32 v20, 16, v242
	s_delay_alu instid0(VALU_DEP_3)
	v_fma_f16 v21, v184, v52, -v21
	v_lshrrev_b32_e32 v222, 16, v63
	v_lshrrev_b32_e32 v217, 16, v59
	;; [unrolled: 1-line block ×10, first 2 shown]
	v_mul_f16_e64 v4, v86, v199
	v_mul_f16_e64 v6, v123, v196
	;; [unrolled: 1-line block ×3, first 2 shown]
	v_lshrrev_b32_e32 v220, 16, v58
	v_lshrrev_b32_e32 v216, 16, v56
	v_fmac_f16_e32 v4, v3, v67
	v_fmac_f16_e32 v6, v5, v68
	v_mul_f16_e64 v3, v3, v199
	v_mul_f16_e64 v5, v5, v196
	;; [unrolled: 1-line block ×3, first 2 shown]
	v_add_f16_e32 v9, v8, v4
	v_add_f16_e32 v14, v4, v6
	v_fma_f16 v3, v86, v67, -v3
	v_fma_f16 v5, v123, v68, -v5
	v_sub_f16_e32 v4, v4, v6
	v_add_f16_e32 v6, v9, v6
	v_fmac_f16_e32 v8, -0.5, v14
	v_add_f16_e32 v9, v82, v3
	v_add_f16_e32 v14, v3, v5
	v_sub_f16_e32 v3, v3, v5
	v_fmac_f16_e32 v24, v20, v58
	v_mul_f16_e64 v25, v243, v216
	v_add_f16_e32 v9, v9, v5
	v_fma_f16 v5, -0.5, v14, v82
	v_lshrrev_b32_e32 v14, 16, v134
	s_delay_alu instid0(VALU_DEP_3) | instskip(NEXT) | instid1(VALU_DEP_3)
	v_pack_b32_f16 v2, v9, v6
	v_fmamk_f16 v6, v4, 0x3aee, v5
	v_fmamk_f16 v9, v3, 0xbaee, v8
	v_fmac_f16_e32 v5, 0xbaee, v4
	v_fmac_f16_e32 v8, 0x3aee, v3
	v_lshrrev_b32_e32 v3, 16, v124
	v_mul_f16_e64 v15, v14, v203
	v_pack_b32_f16 v6, v6, v9
	ds_store_b32 v158, v2 offset:720
	ds_store_2addr_b32 v237, v1, v6 offset0:134 offset1:224
	v_pack_b32_f16 v1, v5, v8
	v_mul_f16_e64 v4, v3, v201
	v_mul_f16_e64 v2, v87, v202
	v_mul_f16_e64 v5, v124, v201
	v_fma_f16 v15, v134, v51, -v15
	ds_store_2addr_b32 v165, v0, v1 offset0:50 offset1:140
	s_wait_alu 0xfffd
	v_cndmask_b32_e64 v0, 0, 0x384, vcc_lo
	v_fma_f16 v4, v124, v66, -v4
	v_fmac_f16_e32 v5, v3, v66
	v_lshrrev_b32_e32 v3, 16, v83
	v_fmac_f16_e32 v17, v14, v51
	v_add_lshl_u32 v179, v69, v0, 2
	v_lshrrev_b32_e32 v0, 16, v87
	s_delay_alu instid0(VALU_DEP_1) | instskip(SKIP_1) | instid1(VALU_DEP_2)
	v_mul_f16_e64 v1, v0, v202
	v_fmac_f16_e32 v2, v0, v65
	v_fma_f16 v1, v87, v65, -v1
	s_delay_alu instid0(VALU_DEP_1) | instskip(SKIP_1) | instid1(VALU_DEP_2)
	v_add_f16_e32 v0, v1, v4
	v_add_f16_e32 v6, v83, v1
	v_fmac_f16_e32 v83, -0.5, v0
	v_sub_f16_e32 v0, v2, v5
	s_delay_alu instid0(VALU_DEP_1) | instskip(SKIP_3) | instid1(VALU_DEP_2)
	v_fmamk_f16 v8, v0, 0x3aee, v83
	v_fmac_f16_e32 v83, 0xbaee, v0
	v_add_f16_e32 v0, v2, v5
	v_add_f16_e32 v2, v3, v2
	v_fmac_f16_e32 v3, -0.5, v0
	v_sub_f16_e32 v0, v1, v4
	v_add_f16_e32 v4, v6, v4
	s_delay_alu instid0(VALU_DEP_4) | instskip(SKIP_1) | instid1(VALU_DEP_4)
	v_add_f16_e32 v2, v2, v5
	v_lshrrev_b32_e32 v6, 16, v126
	v_fmamk_f16 v1, v0, 0xbaee, v3
	v_fmac_f16_e32 v3, 0x3aee, v0
	s_delay_alu instid0(VALU_DEP_4) | instskip(SKIP_1) | instid1(VALU_DEP_4)
	v_pack_b32_f16 v2, v4, v2
	v_lshrrev_b32_e32 v4, 16, v125
	v_pack_b32_f16 v1, v8, v1
	s_delay_alu instid0(VALU_DEP_4)
	v_pack_b32_f16 v0, v83, v3
	v_lshrrev_b32_e32 v3, 16, v133
	v_add_f16_e32 v8, v6, v17
	ds_store_b32 v179, v2
	ds_store_b32 v179, v1 offset:1200
	ds_store_b32 v179, v0 offset:2400
	v_mul_f16_e64 v9, v3, v205
	v_fmac_f16_e32 v16, v3, v53
	v_add_f16_e32 v8, v8, v23
	s_delay_alu instid0(VALU_DEP_3) | instskip(NEXT) | instid1(VALU_DEP_3)
	v_fma_f16 v9, v133, v53, -v9
	v_add_f16_e32 v5, v4, v16
	v_add_f16_e32 v0, v16, v22
	v_sub_f16_e32 v1, v16, v22
	v_lshrrev_b32_e32 v16, 16, v240
	v_add_f16_e32 v3, v125, v9
	v_add_f16_e32 v5, v5, v22
	v_fmac_f16_e32 v4, -0.5, v0
	v_add_f16_e32 v0, v9, v19
	v_sub_f16_e32 v2, v9, v19
	v_add_f16_e32 v3, v3, v19
	v_mul_f16_e64 v19, v240, v210
	v_lshrrev_b32_e32 v22, 16, v243
	v_fma_f16 v0, -0.5, v0, v125
	v_fmamk_f16 v9, v2, 0xbaee, v4
	v_pack_b32_f16 v3, v3, v5
	v_add_f16_e32 v5, v126, v15
	v_fmac_f16_e32 v4, 0x3aee, v2
	v_lshrrev_b32_e32 v2, 16, v215
	v_fmac_f16_e32 v19, v16, v55
	v_fmac_f16_e32 v25, v22, v56
	v_add_f16_e32 v5, v5, v21
	s_delay_alu instid0(VALU_DEP_1)
	v_pack_b32_f16 v5, v5, v8
	v_fmamk_f16 v8, v1, 0x3aee, v0
	v_fmac_f16_e32 v0, 0xbaee, v1
	ds_store_2addr_b32 v200, v3, v5 offset0:64 offset1:154
	v_add_f16_e32 v3, v15, v21
	v_sub_f16_e32 v5, v17, v23
	v_pack_b32_f16 v8, v8, v9
	v_pack_b32_f16 v0, v0, v4
	v_mul_f16_e64 v4, v214, v222
	v_fmac_f16_e32 v126, -0.5, v3
	v_add_f16_e32 v3, v17, v23
	v_mul_f16_e64 v17, v16, v210
	v_mul_f16_e64 v23, v22, v216
	v_lshrrev_b32_e32 v22, 16, v207
	v_fmamk_f16 v9, v5, 0x3aee, v126
	v_fmac_f16_e32 v6, -0.5, v3
	v_sub_f16_e32 v3, v15, v21
	v_fmac_f16_e32 v126, 0xbaee, v5
	v_mul_f16_e64 v5, v215, v217
	v_mul_f16_e64 v21, v20, v220
	v_fma_f16 v17, v240, v55, -v17
	v_fmamk_f16 v14, v3, 0xbaee, v6
	v_fmac_f16_e32 v6, 0x3aee, v3
	v_fmac_f16_e32 v5, v2, v59
	v_fma_f16 v23, v243, v56, -v23
	v_fma_f16 v21, v242, v58, -v21
	v_pack_b32_f16 v9, v9, v14
	v_pack_b32_f16 v3, v126, v6
	v_lshrrev_b32_e32 v6, 16, v225
	v_lshrrev_b32_e32 v14, 16, v239
	ds_store_2addr_b32 v97, v8, v9 offset0:108 offset1:198
	ds_store_2addr_b32 v92, v0, v3 offset0:24 offset1:114
	v_mul_f16_e64 v3, v2, v217
	v_mul_f16_e64 v8, v6, v221
	;; [unrolled: 1-line block ×3, first 2 shown]
	v_lshrrev_b32_e32 v0, 16, v214
	v_mul_f16_e64 v2, v224, v223
	v_fma_f16 v3, v215, v59, -v3
	v_fma_f16 v8, v225, v60, -v8
	v_fmac_f16_e32 v9, v6, v60
	v_mul_f16_e64 v1, v0, v222
	v_fmac_f16_e32 v4, v0, v63
	v_lshrrev_b32_e32 v0, 16, v224
	v_add_f16_e32 v6, v3, v8
	v_mul_f16_e64 v15, v14, v218
	v_fmac_f16_e32 v18, v14, v57
	v_lshrrev_b32_e32 v14, 16, v208
	v_add_f16_e64 v16, v208, v3
	v_fmac_f16_e64 v208, -0.5, v6
	v_sub_f16_e32 v6, v5, v9
	v_fmac_f16_e32 v2, v0, v64
	v_mul_f16_e64 v0, v0, v223
	v_fma_f16 v1, v214, v63, -v1
	v_sub_f16_e32 v3, v3, v8
	v_fma_f16 v20, 0x3aee, v6, v208
	v_fmac_f16_e64 v208, 0xbaee, v6
	v_add_f16_e32 v6, v5, v9
	v_fma_f16 v0, v224, v64, -v0
	v_add_f16_e32 v5, v14, v5
	v_add_f16_e64 v26, v207, v1
	v_add_f16_e32 v27, v4, v2
	v_fmac_f16_e32 v14, -0.5, v6
	v_add_f16_e32 v28, v22, v4
	v_add_f16_e32 v5, v5, v9
	;; [unrolled: 1-line block ×3, first 2 shown]
	v_fmac_f16_e32 v22, -0.5, v27
	v_fmamk_f16 v6, v3, 0xbaee, v14
	v_fmac_f16_e32 v14, 0x3aee, v3
	v_add_f16_e32 v3, v1, v0
	v_sub_f16_e32 v0, v1, v0
	v_sub_f16_e32 v1, v4, v2
	v_lshrrev_b32_e32 v9, 16, v227
	v_fma_f16 v15, v239, v57, -v15
	v_fma_f16 v3, -0.5, v3, v207
	v_add_f16_e32 v30, v18, v24
	v_pack_b32_f16 v14, v208, v14
	s_delay_alu instid0(VALU_DEP_4) | instskip(NEXT) | instid1(VALU_DEP_4)
	v_add_f16_e64 v29, v226, v15
	v_fmamk_f16 v4, v1, 0x3aee, v3
	v_fmac_f16_e32 v3, 0xbaee, v1
	v_add_f16_e32 v1, v28, v2
	v_fmamk_f16 v2, v0, 0xbaee, v22
	v_fmac_f16_e32 v22, 0x3aee, v0
	v_add_f16_e32 v0, v16, v8
	v_add_f16_e32 v8, v17, v23
	v_add_f16_e64 v16, v227, v17
	v_pack_b32_f16 v2, v4, v2
	v_and_b32_e32 v4, 0xffff, v10
	v_pack_b32_f16 v1, v26, v1
	v_fmac_f16_e64 v227, -0.5, v8
	v_sub_f16_e32 v8, v19, v25
	v_pack_b32_f16 v3, v3, v22
	v_lshlrev_b32_e32 v187, 2, v4
	v_lshrrev_b32_e32 v28, 16, v226
	v_pack_b32_f16 v0, v0, v5
	v_fma_f16 v27, 0x3aee, v8, v227
	v_fmac_f16_e64 v227, 0xbaee, v8
	v_add_f16_e32 v8, v19, v25
	v_add_f16_e32 v19, v9, v19
	ds_store_b32 v187, v1
	ds_store_b32 v187, v2 offset:1200
	ds_store_b32 v187, v3 offset:2400
	v_pack_b32_f16 v1, v20, v6
	v_add_f16_e32 v31, v28, v18
	v_fmac_f16_e32 v9, -0.5, v8
	v_sub_f16_e32 v8, v17, v23
	v_fmac_f16_e32 v28, -0.5, v30
	v_sub_f16_e32 v18, v18, v24
	ds_store_b32 v185, v0 offset:7200
	ds_store_b32 v185, v1 offset:8400
	v_and_b32_e32 v0, 0xffff, v11
	v_fmamk_f16 v17, v8, 0xbaee, v9
	v_fmac_f16_e32 v9, 0x3aee, v8
	v_add_f16_e32 v8, v15, v21
	v_sub_f16_e32 v15, v15, v21
	v_add_f16_e32 v29, v29, v21
	v_add_f16_e32 v12, v19, v25
	v_lshlrev_b32_e32 v183, 2, v0
	v_fma_f16 v8, -0.5, v8, v226
	v_and_b32_e32 v0, 0xffff, v13
	v_pack_b32_f16 v6, v27, v17
	v_pack_b32_f16 v9, v227, v9
	s_delay_alu instid0(VALU_DEP_4)
	v_fmamk_f16 v21, v18, 0x3aee, v8
	v_fmac_f16_e32 v8, 0xbaee, v18
	v_add_f16_e32 v18, v31, v24
	v_fmamk_f16 v24, v15, 0xbaee, v28
	v_fmac_f16_e32 v28, 0x3aee, v15
	v_add_f16_e32 v15, v16, v23
	v_lshlrev_b32_e32 v184, 2, v0
	v_pack_b32_f16 v2, v29, v18
	v_pack_b32_f16 v3, v21, v24
	;; [unrolled: 1-line block ×4, first 2 shown]
	v_lshlrev_b32_e32 v0, 3, v100
	ds_store_b32 v185, v14 offset:9600
	ds_store_b32 v183, v2 offset:7200
	;; [unrolled: 1-line block ×7, first 2 shown]
	global_wb scope:SCOPE_SE
	s_wait_dscnt 0x0
	s_barrier_signal -1
	s_barrier_wait -1
	global_inv scope:SCOPE_SE
	s_clause 0x3
	global_load_b64 v[75:76], v70, s[6:7] offset:3588
	global_load_b64 v[73:74], v73, s[6:7] offset:3588
	;; [unrolled: 1-line block ×4, first 2 shown]
	ds_load_2addr_b32 v[81:82], v250 offset0:132 offset1:222
	s_wait_dscnt 0x0
	v_lshrrev_b32_e32 v0, 16, v81
	v_lshrrev_b32_e32 v2, 16, v82
	s_wait_loadcnt 0x3
	v_lshrrev_b32_e32 v214, 16, v75
	s_wait_loadcnt 0x2
	v_lshrrev_b32_e32 v207, 16, v73
	v_lshrrev_b32_e32 v215, 16, v76
	v_lshrrev_b32_e32 v208, 16, v74
	s_wait_loadcnt 0x1
	v_lshrrev_b32_e32 v225, 16, v71
	v_mul_f16_e64 v1, v81, v214
	v_mul_f16_e64 v3, v2, v207
	;; [unrolled: 1-line block ×3, first 2 shown]
	v_lshrrev_b32_e32 v224, 16, v72
	s_wait_loadcnt 0x0
	v_lshrrev_b32_e32 v227, 16, v69
	v_fmac_f16_e32 v1, v0, v75
	v_mul_f16_e64 v0, v0, v214
	v_fma_f16 v10, v82, v73, -v3
	v_fmac_f16_e32 v11, v2, v73
	v_lshrrev_b32_e32 v226, 16, v70
	s_delay_alu instid0(VALU_DEP_4)
	v_fma_f16 v0, v81, v75, -v0
	ds_load_2addr_b32 v[81:82], v163 offset0:8 offset1:98
	s_wait_dscnt 0x0
	v_lshrrev_b32_e32 v3, 16, v81
	v_mul_f16_e64 v4, v81, v215
	v_lshrrev_b32_e32 v5, 16, v82
	v_mul_f16_e64 v13, v82, v208
	s_delay_alu instid0(VALU_DEP_3) | instskip(SKIP_1) | instid1(VALU_DEP_4)
	v_fmac_f16_e32 v4, v3, v76
	v_mul_f16_e64 v3, v3, v215
	v_mul_f16_e64 v6, v5, v208
	s_delay_alu instid0(VALU_DEP_4) | instskip(NEXT) | instid1(VALU_DEP_4)
	v_fmac_f16_e32 v13, v5, v74
	v_sub_f16_e32 v7, v1, v4
	s_delay_alu instid0(VALU_DEP_4) | instskip(NEXT) | instid1(VALU_DEP_4)
	v_fma_f16 v3, v81, v76, -v3
	v_fma_f16 v12, v82, v74, -v6
	ds_load_2addr_b32 v[81:82], v158 offset1:90
	v_add_f16_e32 v9, v1, v4
	v_add_f16_e32 v6, v0, v3
	s_wait_dscnt 0x0
	s_delay_alu instid0(VALU_DEP_1) | instskip(SKIP_1) | instid1(VALU_DEP_2)
	v_fma_f16 v6, -0.5, v6, v81
	v_lshrrev_b32_e32 v15, 16, v82
	v_fmamk_f16 v8, v7, 0x3aee, v6
	v_fmac_f16_e32 v6, 0xbaee, v7
	v_lshrrev_b32_e32 v7, 16, v81
	s_delay_alu instid0(VALU_DEP_1) | instskip(SKIP_3) | instid1(VALU_DEP_4)
	v_add_f16_e32 v1, v7, v1
	v_fmac_f16_e32 v7, -0.5, v9
	v_sub_f16_e32 v9, v0, v3
	v_add_f16_e32 v0, v81, v0
	v_add_f16_e32 v1, v1, v4
	s_delay_alu instid0(VALU_DEP_3) | instskip(NEXT) | instid1(VALU_DEP_3)
	v_fmamk_f16 v14, v9, 0xbaee, v7
	v_add_f16_e32 v0, v0, v3
	v_fmac_f16_e32 v7, 0x3aee, v9
	s_delay_alu instid0(VALU_DEP_3) | instskip(NEXT) | instid1(VALU_DEP_3)
	v_pack_b32_f16 v3, v8, v14
	v_pack_b32_f16 v14, v0, v1
	v_add_f16_e32 v0, v82, v10
	v_add_f16_e32 v1, v15, v11
	v_pack_b32_f16 v4, v6, v7
	ds_store_b32 v158, v3 offset:3600
	ds_store_b32 v158, v4 offset:7200
	v_add_f16_e32 v0, v0, v12
	v_add_f16_e32 v1, v1, v13
	s_delay_alu instid0(VALU_DEP_1)
	v_pack_b32_f16 v16, v0, v1
	ds_load_2addr_b32 v[83:84], v238 offset0:52 offset1:142
	ds_load_2addr_b32 v[86:87], v241 offset0:56 offset1:146
	;; [unrolled: 1-line block ×12, first 2 shown]
	ds_store_2addr_b32 v158, v14, v16 offset1:90
	v_add_f16_e32 v14, v10, v12
	v_sub_f16_e32 v10, v10, v12
	s_wait_dscnt 0xc
	v_lshrrev_b32_e32 v17, 16, v83
	s_delay_alu instid0(VALU_DEP_3)
	v_fmac_f16_e32 v82, -0.5, v14
	v_add_f16_e32 v14, v11, v13
	v_sub_f16_e32 v11, v11, v13
	s_wait_dscnt 0xb
	v_lshrrev_b32_e32 v13, 16, v86
	s_wait_dscnt 0xa
	v_mul_f16_e64 v16, v123, v224
	v_fmac_f16_e32 v15, -0.5, v14
	v_fmamk_f16 v12, v11, 0x3aee, v82
	v_fmac_f16_e32 v82, 0xbaee, v11
	v_mul_f16_e64 v14, v86, v225
	s_delay_alu instid0(VALU_DEP_4) | instskip(SKIP_1) | instid1(VALU_DEP_3)
	v_fmamk_f16 v11, v10, 0xbaee, v15
	v_fmac_f16_e32 v15, 0x3aee, v10
	v_fmac_f16_e32 v14, v13, v71
	s_delay_alu instid0(VALU_DEP_3) | instskip(NEXT) | instid1(VALU_DEP_3)
	v_pack_b32_f16 v11, v12, v11
	v_pack_b32_f16 v10, v82, v15
	v_lshrrev_b32_e32 v15, 16, v123
	v_mul_f16_e64 v12, v13, v225
	v_add_f16_e32 v19, v17, v14
	s_delay_alu instid0(VALU_DEP_3) | instskip(SKIP_1) | instid1(VALU_DEP_4)
	v_mul_f16_e64 v13, v15, v224
	v_fmac_f16_e32 v16, v15, v72
	v_fma_f16 v12, v86, v71, -v12
	s_delay_alu instid0(VALU_DEP_3) | instskip(NEXT) | instid1(VALU_DEP_3)
	v_fma_f16 v13, v123, v72, -v13
	v_add_f16_e32 v18, v14, v16
	v_sub_f16_e32 v14, v14, v16
	s_delay_alu instid0(VALU_DEP_3) | instskip(NEXT) | instid1(VALU_DEP_3)
	v_add_f16_e32 v15, v12, v13
	v_fmac_f16_e32 v17, -0.5, v18
	v_sub_f16_e32 v18, v12, v13
	v_add_f16_e32 v12, v83, v12
	s_delay_alu instid0(VALU_DEP_4) | instskip(NEXT) | instid1(VALU_DEP_3)
	v_fma_f16 v15, -0.5, v15, v83
	v_fmamk_f16 v21, v18, 0xbaee, v17
	v_fmac_f16_e32 v17, 0x3aee, v18
	s_delay_alu instid0(VALU_DEP_4) | instskip(NEXT) | instid1(VALU_DEP_4)
	v_add_f16_e32 v12, v12, v13
	v_fmamk_f16 v20, v14, 0x3aee, v15
	v_fmac_f16_e32 v15, 0xbaee, v14
	v_mul_f16_e64 v14, v87, v227
	v_add_f16_e32 v13, v19, v16
	v_mul_f16_e64 v18, v124, v226
	v_pack_b32_f16 v20, v20, v21
	v_lshlrev_b32_e32 v16, 3, v212
	ds_store_2addr_b32 v200, v11, v20 offset0:94 offset1:184
	v_pack_b32_f16 v11, v15, v17
	v_lshrrev_b32_e32 v15, 16, v124
	ds_store_2addr_b32 v163, v10, v11 offset0:98 offset1:188
	v_lshrrev_b32_e32 v10, 16, v87
	v_mul_f16_e64 v17, v15, v226
	v_fmac_f16_e32 v18, v15, v70
	s_delay_alu instid0(VALU_DEP_3)
	v_mul_f16_e64 v11, v10, v227
	v_fmac_f16_e32 v14, v10, v69
	v_pack_b32_f16 v10, v12, v13
	v_lshrrev_b32_e32 v13, 16, v84
	v_fma_f16 v17, v124, v70, -v17
	v_fma_f16 v11, v87, v69, -v11
	s_delay_alu instid0(VALU_DEP_3) | instskip(NEXT) | instid1(VALU_DEP_2)
	v_add_f16_e32 v15, v13, v14
	v_add_f16_e32 v12, v84, v11
	s_delay_alu instid0(VALU_DEP_2) | instskip(NEXT) | instid1(VALU_DEP_2)
	v_add_f16_e32 v15, v15, v18
	v_add_f16_e32 v12, v12, v17
	s_delay_alu instid0(VALU_DEP_1) | instskip(SKIP_4) | instid1(VALU_DEP_2)
	v_pack_b32_f16 v12, v12, v15
	v_lshlrev_b32_e32 v15, 3, v229
	ds_store_2addr_b32 v238, v10, v12 offset0:52 offset1:142
	v_add_f16_e32 v10, v11, v17
	v_sub_f16_e32 v12, v14, v18
	v_fmac_f16_e32 v84, -0.5, v10
	v_add_f16_e32 v10, v14, v18
	v_lshlrev_b32_e32 v14, 3, v213
	s_delay_alu instid0(VALU_DEP_2)
	v_fmac_f16_e32 v13, -0.5, v10
	v_sub_f16_e32 v10, v11, v17
	v_fmamk_f16 v11, v12, 0x3aee, v84
	v_fmac_f16_e32 v84, 0xbaee, v12
	s_wait_dscnt 0xc
	v_lshrrev_b32_e32 v17, 16, v125
	v_fmamk_f16 v12, v10, 0xbaee, v13
	v_fmac_f16_e32 v13, 0x3aee, v10
	s_delay_alu instid0(VALU_DEP_2) | instskip(NEXT) | instid1(VALU_DEP_2)
	v_pack_b32_f16 v11, v11, v12
	v_pack_b32_f16 v10, v84, v13
	v_lshlrev_b32_e32 v13, 3, v230
	s_clause 0x3
	global_load_b64 v[83:84], v13, s[6:7] offset:3588
	global_load_b64 v[81:82], v14, s[6:7] offset:3588
	;; [unrolled: 1-line block ×4, first 2 shown]
	s_wait_dscnt 0xb
	v_lshrrev_b32_e32 v13, 16, v133
	s_wait_dscnt 0xa
	v_lshrrev_b32_e32 v15, 16, v245
	s_wait_loadcnt 0x3
	v_lshrrev_b32_e32 v240, 16, v83
	v_lshrrev_b32_e32 v239, 16, v84
	s_wait_loadcnt 0x2
	v_lshrrev_b32_e32 v243, 16, v81
	v_lshrrev_b32_e32 v242, 16, v82
	s_wait_loadcnt 0x0
	v_lshrrev_b32_e32 v249, 16, v212
	v_mul_f16_e64 v14, v133, v240
	v_mul_f16_e64 v16, v245, v239
	;; [unrolled: 1-line block ×3, first 2 shown]
	v_lshrrev_b32_e32 v247, 16, v213
	s_delay_alu instid0(VALU_DEP_4) | instskip(SKIP_3) | instid1(VALU_DEP_4)
	v_fmac_f16_e32 v14, v13, v83
	v_mul_f16_e64 v13, v15, v239
	v_fmac_f16_e32 v16, v15, v84
	v_fma_f16 v12, v133, v83, -v12
	v_add_f16_e32 v19, v17, v14
	s_delay_alu instid0(VALU_DEP_4) | instskip(NEXT) | instid1(VALU_DEP_4)
	v_fma_f16 v13, v245, v84, -v13
	v_add_f16_e32 v18, v14, v16
	v_sub_f16_e32 v14, v14, v16
	v_lshrrev_b32_e32 v245, 16, v230
	s_delay_alu instid0(VALU_DEP_4) | instskip(NEXT) | instid1(VALU_DEP_4)
	v_add_f16_e32 v15, v12, v13
	v_fmac_f16_e32 v17, -0.5, v18
	v_sub_f16_e32 v18, v12, v13
	v_add_f16_e32 v12, v125, v12
	s_delay_alu instid0(VALU_DEP_4) | instskip(NEXT) | instid1(VALU_DEP_3)
	v_fma_f16 v15, -0.5, v15, v125
	v_fmamk_f16 v21, v18, 0xbaee, v17
	v_fmac_f16_e32 v17, 0x3aee, v18
	s_delay_alu instid0(VALU_DEP_4) | instskip(NEXT) | instid1(VALU_DEP_4)
	v_add_f16_e32 v12, v12, v13
	v_fmamk_f16 v20, v14, 0x3aee, v15
	v_fmac_f16_e32 v15, 0xbaee, v14
	v_mul_f16_e64 v14, v134, v243
	v_add_f16_e32 v13, v19, v16
	v_mul_f16_e64 v18, v246, v242
	v_pack_b32_f16 v20, v20, v21
	s_wait_dscnt 0x7
	v_mul_f16_e64 v16, v4, v245
	ds_store_2addr_b32 v241, v11, v20 offset0:146 offset1:236
	v_pack_b32_f16 v11, v15, v17
	v_lshrrev_b32_e32 v15, 16, v246
	ds_store_2addr_b32 v251, v10, v11 offset0:22 offset1:112
	v_lshrrev_b32_e32 v10, 16, v134
	v_mul_f16_e64 v17, v15, v242
	v_fmac_f16_e32 v18, v15, v82
	s_delay_alu instid0(VALU_DEP_3)
	v_mul_f16_e64 v11, v10, v243
	v_fmac_f16_e32 v14, v10, v81
	v_pack_b32_f16 v10, v12, v13
	v_lshrrev_b32_e32 v13, 16, v126
	v_fma_f16 v17, v246, v82, -v17
	v_fma_f16 v11, v134, v81, -v11
	v_lshrrev_b32_e32 v246, 16, v229
	s_delay_alu instid0(VALU_DEP_4) | instskip(NEXT) | instid1(VALU_DEP_3)
	v_add_f16_e32 v15, v13, v14
	v_add_f16_e32 v12, v126, v11
	s_delay_alu instid0(VALU_DEP_2) | instskip(NEXT) | instid1(VALU_DEP_2)
	v_add_f16_e32 v15, v15, v18
	v_add_f16_e32 v12, v12, v17
	s_delay_alu instid0(VALU_DEP_1)
	v_pack_b32_f16 v12, v12, v15
	v_lshrrev_b32_e32 v15, 16, v4
	ds_store_2addr_b32 v237, v10, v12 offset0:104 offset1:194
	v_add_f16_e32 v10, v11, v17
	v_sub_f16_e32 v12, v14, v18
	v_fmac_f16_e64 v16, v15, v230
	s_delay_alu instid0(VALU_DEP_3) | instskip(SKIP_2) | instid1(VALU_DEP_2)
	v_fmac_f16_e32 v126, -0.5, v10
	v_add_f16_e32 v10, v14, v18
	v_mul_f16_e64 v14, v2, v246
	v_fmac_f16_e32 v13, -0.5, v10
	v_sub_f16_e32 v10, v11, v17
	v_fmamk_f16 v11, v12, 0x3aee, v126
	v_fmac_f16_e32 v126, 0xbaee, v12
	v_lshrrev_b32_e32 v17, 16, v88
	s_delay_alu instid0(VALU_DEP_4) | instskip(SKIP_1) | instid1(VALU_DEP_2)
	v_fmamk_f16 v12, v10, 0xbaee, v13
	v_fmac_f16_e32 v13, 0x3aee, v10
	v_pack_b32_f16 v11, v11, v12
	s_delay_alu instid0(VALU_DEP_2) | instskip(SKIP_1) | instid1(VALU_DEP_1)
	v_pack_b32_f16 v10, v126, v13
	v_lshrrev_b32_e32 v13, 16, v2
	v_fmac_f16_e64 v14, v13, v229
	v_mul_f16_e64 v12, v13, v246
	v_mul_f16_e64 v13, v15, v245
	s_delay_alu instid0(VALU_DEP_3) | instskip(NEXT) | instid1(VALU_DEP_3)
	v_add_f16_e32 v18, v14, v16
	v_fma_f16 v2, v2, v229, -v12
	s_delay_alu instid0(VALU_DEP_3) | instskip(SKIP_3) | instid1(VALU_DEP_4)
	v_fma_f16 v4, v4, v230, -v13
	v_add_f16_e32 v19, v17, v14
	v_sub_f16_e32 v13, v14, v16
	v_fmac_f16_e32 v17, -0.5, v18
	v_add_f16_e32 v12, v2, v4
	v_sub_f16_e32 v14, v2, v4
	v_add_f16_e32 v2, v88, v2
	s_delay_alu instid0(VALU_DEP_3) | instskip(NEXT) | instid1(VALU_DEP_3)
	v_fma_f16 v12, -0.5, v12, v88
	v_fmamk_f16 v18, v14, 0xbaee, v17
	v_fmac_f16_e32 v17, 0x3aee, v14
	s_delay_alu instid0(VALU_DEP_4) | instskip(SKIP_3) | instid1(VALU_DEP_3)
	v_add_f16_e32 v2, v2, v4
	v_add_f16_e32 v4, v19, v16
	v_fmamk_f16 v15, v13, 0x3aee, v12
	v_fmac_f16_e32 v12, 0xbaee, v13
	v_pack_b32_f16 v2, v2, v4
	s_delay_alu instid0(VALU_DEP_3)
	v_pack_b32_f16 v15, v15, v18
	ds_store_2addr_b32 v143, v11, v15 offset0:70 offset1:160
	v_pack_b32_f16 v11, v12, v17
	v_lshrrev_b32_e32 v12, 16, v5
	ds_store_2addr_b32 v91, v10, v11 offset0:74 offset1:164
	v_lshrrev_b32_e32 v10, 16, v3
	v_mul_f16_e64 v13, v12, v247
	s_delay_alu instid0(VALU_DEP_2) | instskip(NEXT) | instid1(VALU_DEP_2)
	v_mul_f16_e64 v11, v10, v249
	v_fma_f16 v13, v5, v213, -v13
	v_mul_f16_e64 v5, v5, v247
	s_delay_alu instid0(VALU_DEP_3) | instskip(SKIP_1) | instid1(VALU_DEP_3)
	v_fma_f16 v11, v3, v212, -v11
	v_mul_f16_e64 v3, v3, v249
	v_fmac_f16_e64 v5, v12, v213
	s_delay_alu instid0(VALU_DEP_3) | instskip(NEXT) | instid1(VALU_DEP_3)
	v_add_f16_e32 v4, v89, v11
	v_fmac_f16_e64 v3, v10, v212
	v_lshrrev_b32_e32 v10, 16, v89
	s_delay_alu instid0(VALU_DEP_3) | instskip(NEXT) | instid1(VALU_DEP_2)
	v_add_f16_e32 v4, v4, v13
	v_add_f16_e32 v12, v10, v3
	s_delay_alu instid0(VALU_DEP_1) | instskip(NEXT) | instid1(VALU_DEP_1)
	v_add_f16_e32 v12, v12, v5
	v_pack_b32_f16 v4, v4, v12
	ds_store_2addr_b32 v157, v2, v4 offset0:28 offset1:118
	v_add_f16_e32 v2, v11, v13
	s_delay_alu instid0(VALU_DEP_1) | instskip(SKIP_3) | instid1(VALU_DEP_3)
	v_fmac_f16_e32 v89, -0.5, v2
	v_add_f16_e32 v2, v3, v5
	v_sub_f16_e32 v3, v3, v5
	v_lshlrev_b32_e32 v5, 3, v85
	v_fmac_f16_e32 v10, -0.5, v2
	v_sub_f16_e32 v2, v11, v13
	s_delay_alu instid0(VALU_DEP_4)
	v_fmamk_f16 v4, v3, 0x3aee, v89
	v_fmac_f16_e32 v89, 0xbaee, v3
	s_wait_dscnt 0xa
	v_lshrrev_b32_e32 v11, 16, v8
	v_lshrrev_b32_e32 v13, 16, v0
	v_fmamk_f16 v3, v2, 0xbaee, v10
	v_fmac_f16_e32 v10, 0x3aee, v2
	s_delay_alu instid0(VALU_DEP_2) | instskip(NEXT) | instid1(VALU_DEP_2)
	v_pack_b32_f16 v3, v4, v3
	v_pack_b32_f16 v2, v89, v10
	v_lshlrev_b32_e32 v10, 3, v90
	s_clause 0x1
	global_load_b64 v[87:88], v5, s[6:7] offset:3588
	global_load_b64 v[85:86], v10, s[6:7] offset:3588
	v_lshrrev_b32_e32 v5, 16, v6
	v_add_nc_u32_e32 v89, 0x1600, v158
	s_wait_loadcnt 0x1
	v_lshrrev_b32_e32 v48, 16, v87
	v_lshrrev_b32_e32 v253, 16, v88
	s_wait_loadcnt 0x0
	v_lshrrev_b32_e32 v130, 16, v85
	v_lshrrev_b32_e32 v95, 16, v86
	v_mul_f16_e32 v10, v6, v48
	v_mul_f16_e64 v12, v8, v253
	v_mul_f16_e32 v4, v5, v48
	s_delay_alu instid0(VALU_DEP_3) | instskip(SKIP_1) | instid1(VALU_DEP_4)
	v_fmac_f16_e32 v10, v5, v87
	v_mul_f16_e64 v5, v11, v253
	v_fmac_f16_e32 v12, v11, v88
	s_delay_alu instid0(VALU_DEP_4) | instskip(NEXT) | instid1(VALU_DEP_4)
	v_fma_f16 v4, v6, v87, -v4
	v_add_f16_e32 v15, v13, v10
	s_delay_alu instid0(VALU_DEP_4) | instskip(NEXT) | instid1(VALU_DEP_4)
	v_fma_f16 v5, v8, v88, -v5
	v_add_f16_e32 v14, v10, v12
	v_sub_f16_e32 v8, v10, v12
	s_delay_alu instid0(VALU_DEP_3) | instskip(NEXT) | instid1(VALU_DEP_3)
	v_add_f16_e32 v6, v4, v5
	v_fmac_f16_e32 v13, -0.5, v14
	v_sub_f16_e32 v10, v4, v5
	s_delay_alu instid0(VALU_DEP_3) | instskip(SKIP_1) | instid1(VALU_DEP_3)
	v_fma_f16 v6, -0.5, v6, v0
	v_add_f16_e32 v0, v0, v4
	v_fmamk_f16 v14, v10, 0xbaee, v13
	v_fmac_f16_e32 v13, 0x3aee, v10
	v_add_f16_e32 v4, v15, v12
	v_fmamk_f16 v11, v8, 0x3aee, v6
	v_fmac_f16_e32 v6, 0xbaee, v8
	v_add_f16_e32 v0, v0, v5
	s_delay_alu instid0(VALU_DEP_3) | instskip(NEXT) | instid1(VALU_DEP_2)
	v_pack_b32_f16 v11, v11, v14
	v_pack_b32_f16 v0, v0, v4
	v_lshrrev_b32_e32 v4, 16, v1
	ds_store_2addr_b32 v89, v3, v11 offset0:122 offset1:212
	v_pack_b32_f16 v3, v6, v13
	v_mul_f16_e64 v6, v7, v130
	ds_store_2addr_b32 v96, v2, v3 offset0:126 offset1:216
	v_lshrrev_b32_e32 v2, 16, v7
	s_delay_alu instid0(VALU_DEP_1) | instskip(SKIP_1) | instid1(VALU_DEP_2)
	v_mul_f16_e64 v3, v2, v130
	v_fmac_f16_e32 v6, v2, v85
	v_fma_f16 v3, v7, v85, -v3
	v_lshrrev_b32_e32 v7, 16, v9
	s_delay_alu instid0(VALU_DEP_3) | instskip(NEXT) | instid1(VALU_DEP_3)
	v_add_f16_e32 v5, v4, v6
	v_add_f16_e32 v2, v1, v3
	s_delay_alu instid0(VALU_DEP_3) | instskip(NEXT) | instid1(VALU_DEP_1)
	v_mul_f16_e32 v8, v7, v95
	v_fma_f16 v8, v9, v86, -v8
	v_mul_f16_e32 v9, v9, v95
	s_delay_alu instid0(VALU_DEP_2) | instskip(NEXT) | instid1(VALU_DEP_2)
	v_add_f16_e32 v2, v2, v8
	v_fmac_f16_e32 v9, v7, v86
	s_delay_alu instid0(VALU_DEP_1) | instskip(NEXT) | instid1(VALU_DEP_1)
	v_add_f16_e32 v5, v5, v9
	v_pack_b32_f16 v2, v2, v5
	ds_store_2addr_b32 v165, v0, v2 offset0:80 offset1:170
	v_add_f16_e32 v0, v3, v8
	v_sub_f16_e32 v2, v6, v9
	s_delay_alu instid0(VALU_DEP_2) | instskip(SKIP_1) | instid1(VALU_DEP_1)
	v_fmac_f16_e32 v1, -0.5, v0
	v_add_f16_e32 v0, v6, v9
	v_fmac_f16_e32 v4, -0.5, v0
	v_sub_f16_e32 v0, v3, v8
	s_delay_alu instid0(VALU_DEP_4) | instskip(SKIP_1) | instid1(VALU_DEP_3)
	v_fmamk_f16 v3, v2, 0x3aee, v1
	v_fmac_f16_e32 v1, 0xbaee, v2
	v_fmamk_f16 v2, v0, 0xbaee, v4
	v_fmac_f16_e32 v4, 0x3aee, v0
	s_delay_alu instid0(VALU_DEP_1) | instskip(NEXT) | instid1(VALU_DEP_3)
	v_pack_b32_f16 v0, v1, v4
	v_pack_b32_f16 v1, v3, v2
	ds_store_b32 v158, v1 offset:6840
	ds_store_b32 v158, v0 offset:10440
	global_wb scope:SCOPE_SE
	s_wait_dscnt 0x0
	s_barrier_signal -1
	s_barrier_wait -1
	global_inv scope:SCOPE_SE
	s_clause 0x1
	global_load_b32 v2, v158, s[4:5] offset:10800
	global_load_b32 v10, v158, s[2:3] offset:10440
	ds_load_2addr_b32 v[0:1], v158 offset1:90
	s_wait_dscnt 0x0
	v_lshrrev_b32_e32 v4, 16, v0
	s_wait_loadcnt 0x1
	v_lshrrev_b32_e32 v3, 16, v2
	s_delay_alu instid0(VALU_DEP_1) | instskip(NEXT) | instid1(VALU_DEP_3)
	v_mul_f16_e32 v5, v0, v3
	v_mul_f16_e32 v3, v4, v3
	s_delay_alu instid0(VALU_DEP_2) | instskip(NEXT) | instid1(VALU_DEP_2)
	v_fmac_f16_e32 v5, v4, v2
	v_fma_f16 v0, v0, v2, -v3
	s_delay_alu instid0(VALU_DEP_1)
	v_pack_b32_f16 v0, v0, v5
	ds_store_b32 v158, v0
	s_clause 0x4
	global_load_b32 v0, v158, s[2:3] offset:1800
	global_load_b32 v5, v158, s[2:3] offset:2160
	global_load_b32 v11, v158, s[2:3] offset:2520
	global_load_b32 v12, v158, s[2:3] offset:2880
	global_load_b32 v13, v158, s[2:3] offset:1440
	ds_load_2addr_b32 v[2:3], v237 offset0:104 offset1:194
	s_wait_dscnt 0x0
	v_lshrrev_b32_e32 v6, 16, v3
	s_wait_loadcnt 0x4
	v_lshrrev_b32_e32 v4, 16, v0
	s_delay_alu instid0(VALU_DEP_1) | instskip(NEXT) | instid1(VALU_DEP_3)
	v_mul_f16_e32 v7, v3, v4
	v_mul_f16_e32 v4, v6, v4
	s_delay_alu instid0(VALU_DEP_2) | instskip(NEXT) | instid1(VALU_DEP_2)
	v_fmac_f16_e32 v7, v6, v0
	v_fma_f16 v0, v3, v0, -v4
	ds_load_2addr_b32 v[3:4], v157 offset0:28 offset1:118
	s_wait_loadcnt 0x3
	v_lshrrev_b32_e32 v6, 16, v5
	v_pack_b32_f16 v0, v0, v7
	s_wait_dscnt 0x0
	v_lshrrev_b32_e32 v8, 16, v3
	s_delay_alu instid0(VALU_DEP_3) | instskip(NEXT) | instid1(VALU_DEP_2)
	v_mul_f16_e32 v9, v3, v6
	v_mul_f16_e32 v6, v8, v6
	s_delay_alu instid0(VALU_DEP_2) | instskip(NEXT) | instid1(VALU_DEP_2)
	v_fmac_f16_e32 v9, v8, v5
	v_fma_f16 v3, v3, v5, -v6
	v_add_nc_u32_e32 v5, 0x600, v158
	s_delay_alu instid0(VALU_DEP_2)
	v_pack_b32_f16 v3, v3, v9
	ds_store_2addr_b32 v5, v0, v3 offset0:66 offset1:156
	s_clause 0x5
	global_load_b32 v0, v158, s[2:3] offset:7200
	global_load_b32 v3, v158, s[2:3] offset:7560
	;; [unrolled: 1-line block ×6, first 2 shown]
	ds_load_2addr_b32 v[5:6], v163 offset0:8 offset1:98
	global_load_b32 v18, v158, s[2:3] offset:6480
	s_wait_dscnt 0x0
	v_lshrrev_b32_e32 v8, 16, v5
	s_wait_loadcnt 0x6
	v_lshrrev_b32_e32 v7, 16, v0
	s_delay_alu instid0(VALU_DEP_1) | instskip(NEXT) | instid1(VALU_DEP_3)
	v_mul_f16_e32 v17, v5, v7
	v_mul_f16_e32 v7, v8, v7
	s_delay_alu instid0(VALU_DEP_2) | instskip(NEXT) | instid1(VALU_DEP_2)
	v_fmac_f16_e32 v17, v8, v0
	v_fma_f16 v0, v5, v0, -v7
	ds_load_2addr_b32 v[7:8], v92 offset0:84 offset1:174
	s_wait_loadcnt 0x1
	v_lshrrev_b32_e32 v5, 16, v9
	v_pack_b32_f16 v0, v0, v17
	s_wait_dscnt 0x0
	v_lshrrev_b32_e32 v19, 16, v8
	s_delay_alu instid0(VALU_DEP_3) | instskip(NEXT) | instid1(VALU_DEP_2)
	v_mul_f16_e32 v20, v8, v5
	v_mul_f16_e32 v5, v19, v5
	s_delay_alu instid0(VALU_DEP_2) | instskip(NEXT) | instid1(VALU_DEP_2)
	v_fmac_f16_e32 v20, v19, v9
	v_fma_f16 v5, v8, v9, -v5
	v_add_nc_u32_e32 v8, 0x1a00, v158
	s_delay_alu instid0(VALU_DEP_2)
	v_pack_b32_f16 v5, v5, v20
	ds_store_2addr_b32 v8, v5, v0 offset0:46 offset1:136
	s_clause 0x2
	global_load_b32 v0, v158, s[2:3] offset:360
	global_load_b32 v5, v158, s[2:3] offset:720
	;; [unrolled: 1-line block ×3, first 2 shown]
	v_lshrrev_b32_e32 v8, 16, v1
	s_wait_loadcnt 0x2
	v_lshrrev_b32_e32 v9, 16, v0
	s_delay_alu instid0(VALU_DEP_1) | instskip(SKIP_1) | instid1(VALU_DEP_2)
	v_mul_f16_e32 v19, v8, v9
	v_mul_f16_e32 v9, v1, v9
	v_fma_f16 v19, v1, v0, -v19
	s_delay_alu instid0(VALU_DEP_2)
	v_fmac_f16_e32 v9, v8, v0
	s_clause 0x7
	global_load_b32 v8, v158, s[2:3] offset:3600
	global_load_b32 v20, v158, s[2:3] offset:3960
	;; [unrolled: 1-line block ×8, first 2 shown]
	ds_load_2addr_b32 v[0:1], v250 offset0:132 offset1:222
	s_wait_dscnt 0x0
	v_lshrrev_b32_e32 v28, 16, v0
	s_wait_loadcnt 0x7
	v_lshrrev_b32_e32 v27, 16, v8
	s_delay_alu instid0(VALU_DEP_1) | instskip(NEXT) | instid1(VALU_DEP_3)
	v_mul_f16_e32 v29, v0, v27
	v_mul_f16_e32 v27, v28, v27
	s_delay_alu instid0(VALU_DEP_2) | instskip(NEXT) | instid1(VALU_DEP_2)
	v_fmac_f16_e32 v29, v28, v8
	v_fma_f16 v27, v0, v8, -v27
	v_lshrrev_b32_e32 v0, 16, v1
	s_wait_loadcnt 0x6
	v_lshrrev_b32_e32 v8, 16, v20
	s_delay_alu instid0(VALU_DEP_1) | instskip(SKIP_1) | instid1(VALU_DEP_2)
	v_mul_f16_e32 v28, v0, v8
	v_mul_f16_e32 v8, v1, v8
	v_fma_f16 v28, v1, v20, -v28
	v_lshrrev_b32_e32 v1, 16, v3
	s_delay_alu instid0(VALU_DEP_3) | instskip(SKIP_1) | instid1(VALU_DEP_3)
	v_fmac_f16_e32 v8, v0, v20
	v_lshrrev_b32_e32 v0, 16, v6
	v_mul_f16_e32 v30, v6, v1
	s_delay_alu instid0(VALU_DEP_2) | instskip(NEXT) | instid1(VALU_DEP_2)
	v_mul_f16_e32 v20, v0, v1
	v_fmac_f16_e32 v30, v0, v3
	ds_load_2addr_b32 v[0:1], v238 offset0:52 offset1:142
	v_fma_f16 v20, v6, v3, -v20
	v_lshrrev_b32_e32 v3, 16, v5
	s_wait_dscnt 0x0
	v_lshrrev_b32_e32 v6, 16, v0
	s_delay_alu instid0(VALU_DEP_2) | instskip(NEXT) | instid1(VALU_DEP_2)
	v_mul_f16_e32 v31, v0, v3
	v_mul_f16_e32 v3, v6, v3
	s_delay_alu instid0(VALU_DEP_2) | instskip(NEXT) | instid1(VALU_DEP_2)
	v_fmac_f16_e32 v31, v6, v5
	v_fma_f16 v0, v0, v5, -v3
	ds_load_2addr_b32 v[5:6], v241 offset0:56 offset1:146
	v_pack_b32_f16 v3, v19, v9
	v_pack_b32_f16 v0, v0, v31
	ds_store_2addr_b32 v158, v3, v0 offset0:90 offset1:180
	s_wait_loadcnt 0x5
	v_lshrrev_b32_e32 v0, 16, v21
	s_wait_dscnt 0x1
	v_lshrrev_b32_e32 v3, 16, v5
	s_delay_alu instid0(VALU_DEP_2) | instskip(NEXT) | instid1(VALU_DEP_2)
	v_mul_f16_e32 v9, v5, v0
	v_mul_f16_e32 v0, v3, v0
	s_delay_alu instid0(VALU_DEP_2) | instskip(SKIP_1) | instid1(VALU_DEP_3)
	v_fmac_f16_e32 v9, v3, v21
	v_pack_b32_f16 v3, v28, v8
	v_fma_f16 v0, v5, v21, -v0
	s_delay_alu instid0(VALU_DEP_1)
	v_pack_b32_f16 v0, v0, v9
	ds_load_2addr_b32 v[8:9], v98 offset0:60 offset1:150
	ds_store_2addr_b32 v200, v3, v0 offset0:94 offset1:184
	v_lshrrev_b32_e32 v0, 16, v14
	s_wait_dscnt 0x1
	v_lshrrev_b32_e32 v3, 16, v8
	s_delay_alu instid0(VALU_DEP_2) | instskip(NEXT) | instid1(VALU_DEP_2)
	v_mul_f16_e32 v5, v8, v0
	v_mul_f16_e32 v0, v3, v0
	s_delay_alu instid0(VALU_DEP_2) | instskip(SKIP_1) | instid1(VALU_DEP_3)
	v_fmac_f16_e32 v5, v3, v14
	v_pack_b32_f16 v3, v20, v30
	v_fma_f16 v0, v8, v14, -v0
	s_delay_alu instid0(VALU_DEP_1) | instskip(SKIP_3) | instid1(VALU_DEP_1)
	v_pack_b32_f16 v0, v0, v5
	ds_store_2addr_b32 v163, v3, v0 offset0:98 offset1:188
	v_lshrrev_b32_e32 v0, 16, v1
	v_lshrrev_b32_e32 v3, 16, v17
	v_mul_f16_e32 v5, v0, v3
	v_mul_f16_e32 v3, v1, v3
	s_delay_alu instid0(VALU_DEP_2) | instskip(NEXT) | instid1(VALU_DEP_2)
	v_fma_f16 v1, v1, v17, -v5
	v_fmac_f16_e32 v3, v0, v17
	v_lshrrev_b32_e32 v0, 16, v6
	s_wait_loadcnt 0x4
	v_lshrrev_b32_e32 v5, 16, v22
	s_delay_alu instid0(VALU_DEP_1) | instskip(SKIP_1) | instid1(VALU_DEP_2)
	v_mul_f16_e32 v8, v0, v5
	v_mul_f16_e32 v5, v6, v5
	v_fma_f16 v6, v6, v22, -v8
	s_delay_alu instid0(VALU_DEP_2) | instskip(SKIP_2) | instid1(VALU_DEP_1)
	v_fmac_f16_e32 v5, v0, v22
	v_lshrrev_b32_e32 v0, 16, v2
	v_lshrrev_b32_e32 v8, 16, v13
	v_mul_f16_e32 v14, v0, v8
	v_mul_f16_e32 v8, v2, v8
	s_delay_alu instid0(VALU_DEP_2) | instskip(NEXT) | instid1(VALU_DEP_2)
	v_fma_f16 v2, v2, v13, -v14
	v_fmac_f16_e32 v8, v0, v13
	v_lshrrev_b32_e32 v0, 16, v9
	v_lshrrev_b32_e32 v13, 16, v15
	s_delay_alu instid0(VALU_DEP_1) | instskip(SKIP_1) | instid1(VALU_DEP_2)
	v_mul_f16_e32 v14, v0, v13
	v_mul_f16_e32 v13, v9, v13
	v_fma_f16 v9, v9, v15, -v14
	s_delay_alu instid0(VALU_DEP_2)
	v_fmac_f16_e32 v13, v0, v15
	v_pack_b32_f16 v0, v1, v3
	v_pack_b32_f16 v1, v2, v8
	s_wait_loadcnt 0x3
	v_lshrrev_b32_e32 v2, 16, v23
	ds_store_2addr_b32 v237, v0, v1 offset0:14 offset1:104
	ds_load_2addr_b32 v[0:1], v97 offset0:108 offset1:198
	s_wait_dscnt 0x0
	v_lshrrev_b32_e32 v3, 16, v0
	v_mul_f16_e32 v8, v0, v2
	s_delay_alu instid0(VALU_DEP_2) | instskip(NEXT) | instid1(VALU_DEP_2)
	v_mul_f16_e32 v2, v3, v2
	v_fmac_f16_e32 v8, v3, v23
	s_delay_alu instid0(VALU_DEP_2) | instskip(SKIP_1) | instid1(VALU_DEP_2)
	v_fma_f16 v0, v0, v23, -v2
	v_pack_b32_f16 v2, v6, v5
	v_pack_b32_f16 v0, v0, v8
	ds_store_2addr_b32 v241, v2, v0 offset0:146 offset1:236
	ds_load_2addr_b32 v[2:3], v251 offset0:112 offset1:202
	v_lshrrev_b32_e32 v0, 16, v16
	s_wait_dscnt 0x0
	v_lshrrev_b32_e32 v5, 16, v2
	s_delay_alu instid0(VALU_DEP_2) | instskip(NEXT) | instid1(VALU_DEP_2)
	v_mul_f16_e32 v6, v2, v0
	v_mul_f16_e32 v0, v5, v0
	s_delay_alu instid0(VALU_DEP_2) | instskip(NEXT) | instid1(VALU_DEP_2)
	v_fmac_f16_e32 v6, v5, v16
	v_fma_f16 v0, v2, v16, -v0
	v_pack_b32_f16 v2, v9, v13
	s_delay_alu instid0(VALU_DEP_2) | instskip(SKIP_4) | instid1(VALU_DEP_1)
	v_pack_b32_f16 v0, v0, v6
	ds_store_2addr_b32 v251, v2, v0 offset0:22 offset1:112
	v_lshrrev_b32_e32 v0, 16, v1
	s_wait_loadcnt 0x2
	v_lshrrev_b32_e32 v2, 16, v24
	v_mul_f16_e32 v5, v0, v2
	v_mul_f16_e32 v2, v1, v2
	s_delay_alu instid0(VALU_DEP_2) | instskip(NEXT) | instid1(VALU_DEP_2)
	v_fma_f16 v5, v1, v24, -v5
	v_fmac_f16_e32 v2, v0, v24
	s_clause 0x3
	global_load_b32 v0, v158, s[2:3] offset:9000
	global_load_b32 v6, v158, s[2:3] offset:9360
	;; [unrolled: 1-line block ×4, first 2 shown]
	v_lshrrev_b32_e32 v1, 16, v3
	v_pack_b32_f16 v2, v5, v2
	s_wait_loadcnt 0x3
	v_lshrrev_b32_e32 v13, 16, v0
	s_delay_alu instid0(VALU_DEP_1) | instskip(SKIP_1) | instid1(VALU_DEP_2)
	v_mul_f16_e32 v14, v1, v13
	v_mul_f16_e32 v13, v3, v13
	v_fma_f16 v14, v3, v0, -v14
	s_delay_alu instid0(VALU_DEP_2) | instskip(SKIP_4) | instid1(VALU_DEP_2)
	v_fmac_f16_e32 v13, v1, v0
	ds_load_2addr_b32 v[0:1], v143 offset0:160 offset1:250
	v_lshrrev_b32_e32 v3, 16, v25
	s_wait_dscnt 0x0
	v_lshrrev_b32_e32 v15, 16, v0
	v_mul_f16_e32 v16, v0, v3
	s_delay_alu instid0(VALU_DEP_2) | instskip(NEXT) | instid1(VALU_DEP_2)
	v_mul_f16_e32 v3, v15, v3
	v_fmac_f16_e32 v16, v15, v25
	s_delay_alu instid0(VALU_DEP_2) | instskip(NEXT) | instid1(VALU_DEP_1)
	v_fma_f16 v0, v0, v25, -v3
	v_pack_b32_f16 v0, v0, v16
	ds_store_2addr_b32 v143, v2, v0 offset0:70 offset1:160
	ds_load_2addr_b32 v[2:3], v96 offset0:36 offset1:126
	s_wait_loadcnt 0x2
	v_lshrrev_b32_e32 v0, 16, v6
	s_wait_dscnt 0x0
	v_lshrrev_b32_e32 v5, 16, v2
	s_delay_alu instid0(VALU_DEP_2) | instskip(NEXT) | instid1(VALU_DEP_2)
	v_mul_f16_e32 v15, v2, v0
	v_mul_f16_e32 v0, v5, v0
	s_delay_alu instid0(VALU_DEP_2) | instskip(NEXT) | instid1(VALU_DEP_2)
	v_fmac_f16_e32 v15, v5, v6
	v_fma_f16 v0, v2, v6, -v0
	v_pack_b32_f16 v2, v14, v13
	s_delay_alu instid0(VALU_DEP_2) | instskip(SKIP_3) | instid1(VALU_DEP_1)
	v_pack_b32_f16 v0, v0, v15
	ds_store_2addr_b32 v91, v2, v0 offset0:74 offset1:164
	v_lshrrev_b32_e32 v0, 16, v4
	v_lshrrev_b32_e32 v2, 16, v11
	v_mul_f16_e32 v5, v0, v2
	v_mul_f16_e32 v2, v4, v2
	s_delay_alu instid0(VALU_DEP_2) | instskip(NEXT) | instid1(VALU_DEP_2)
	v_fma_f16 v4, v4, v11, -v5
	v_fmac_f16_e32 v2, v0, v11
	global_load_b32 v0, v158, s[2:3] offset:6120
	v_lshrrev_b32_e32 v5, 16, v1
	v_pack_b32_f16 v2, v4, v2
	s_wait_loadcnt 0x0
	v_lshrrev_b32_e32 v6, 16, v0
	s_delay_alu instid0(VALU_DEP_1) | instskip(SKIP_1) | instid1(VALU_DEP_2)
	v_mul_f16_e32 v11, v5, v6
	v_mul_f16_e32 v6, v1, v6
	v_fma_f16 v11, v1, v0, -v11
	s_delay_alu instid0(VALU_DEP_2) | instskip(SKIP_2) | instid1(VALU_DEP_1)
	v_fmac_f16_e32 v6, v5, v0
	v_lshrrev_b32_e32 v0, 16, v3
	v_lshrrev_b32_e32 v1, 16, v8
	v_mul_f16_e32 v5, v0, v1
	v_mul_f16_e32 v13, v3, v1
	v_lshrrev_b32_e32 v1, 16, v18
	s_delay_alu instid0(VALU_DEP_3) | instskip(NEXT) | instid1(VALU_DEP_3)
	v_fma_f16 v5, v3, v8, -v5
	v_fmac_f16_e32 v13, v0, v8
	v_lshrrev_b32_e32 v0, 16, v7
	s_delay_alu instid0(VALU_DEP_4) | instskip(NEXT) | instid1(VALU_DEP_2)
	v_mul_f16_e32 v8, v7, v1
	v_mul_f16_e32 v3, v0, v1
	s_delay_alu instid0(VALU_DEP_2)
	v_fmac_f16_e32 v8, v0, v18
	ds_load_2addr_b32 v[0:1], v165 offset0:80 offset1:170
	v_fma_f16 v3, v7, v18, -v3
	v_lshrrev_b32_e32 v7, 16, v12
	s_wait_dscnt 0x0
	v_lshrrev_b32_e32 v14, 16, v0
	s_delay_alu instid0(VALU_DEP_2) | instskip(NEXT) | instid1(VALU_DEP_2)
	v_mul_f16_e32 v15, v0, v7
	v_mul_f16_e32 v7, v14, v7
	s_delay_alu instid0(VALU_DEP_2) | instskip(NEXT) | instid1(VALU_DEP_2)
	v_fmac_f16_e32 v15, v14, v12
	v_fma_f16 v0, v0, v12, -v7
	s_delay_alu instid0(VALU_DEP_1)
	v_pack_b32_f16 v0, v0, v15
	ds_store_2addr_b32 v157, v2, v0 offset0:118 offset1:208
	v_pack_b32_f16 v0, v11, v6
	v_pack_b32_f16 v2, v3, v8
	ds_store_2addr_b32 v89, v0, v2 offset0:122 offset1:212
	ds_load_2addr_b32 v[2:3], v93 offset0:88 offset1:178
	v_lshrrev_b32_e32 v0, 16, v9
	s_wait_dscnt 0x0
	v_lshrrev_b32_e32 v4, 16, v2
	s_delay_alu instid0(VALU_DEP_2) | instskip(NEXT) | instid1(VALU_DEP_2)
	v_mul_f16_e32 v6, v2, v0
	v_mul_f16_e32 v0, v4, v0
	s_delay_alu instid0(VALU_DEP_2) | instskip(NEXT) | instid1(VALU_DEP_2)
	v_fmac_f16_e32 v6, v4, v9
	v_fma_f16 v0, v2, v9, -v0
	v_pack_b32_f16 v2, v5, v13
	s_delay_alu instid0(VALU_DEP_2) | instskip(SKIP_3) | instid1(VALU_DEP_1)
	v_pack_b32_f16 v0, v0, v6
	ds_store_2addr_b32 v96, v2, v0 offset0:126 offset1:216
	v_lshrrev_b32_e32 v0, 16, v1
	v_lshrrev_b32_e32 v2, 16, v26
	v_mul_f16_e32 v4, v0, v2
	v_mul_f16_e32 v2, v1, v2
	s_delay_alu instid0(VALU_DEP_2) | instskip(NEXT) | instid1(VALU_DEP_2)
	v_fma_f16 v1, v1, v26, -v4
	v_fmac_f16_e32 v2, v0, v26
	v_lshrrev_b32_e32 v0, 16, v3
	v_lshrrev_b32_e32 v4, 16, v10
	s_delay_alu instid0(VALU_DEP_3) | instskip(NEXT) | instid1(VALU_DEP_2)
	v_pack_b32_f16 v1, v1, v2
	v_mul_f16_e32 v5, v0, v4
	v_mul_f16_e32 v4, v3, v4
	s_delay_alu instid0(VALU_DEP_2) | instskip(NEXT) | instid1(VALU_DEP_2)
	v_fma_f16 v3, v3, v10, -v5
	v_fmac_f16_e32 v4, v0, v10
	v_pack_b32_f16 v0, v27, v29
	ds_store_2addr_b32 v250, v1, v0 offset0:42 offset1:132
	v_pack_b32_f16 v0, v3, v4
	ds_store_b32 v158, v0 offset:10440
	global_wb scope:SCOPE_SE
	s_wait_dscnt 0x0
	s_barrier_signal -1
	s_barrier_wait -1
	global_inv scope:SCOPE_SE
	ds_load_2addr_b32 v[0:1], v238 offset0:52 offset1:142
	ds_load_2addr_b32 v[2:3], v241 offset0:56 offset1:146
	;; [unrolled: 1-line block ×3, first 2 shown]
	s_wait_dscnt 0x1
	v_pk_add_f16 v6, v0, v2
	s_wait_dscnt 0x0
	v_pk_add_f16 v7, v2, v4
	v_pk_add_f16 v8, v1, v3
	v_pk_add_f16 v9, v2, v4 neg_lo:[0,1] neg_hi:[0,1]
	v_pk_add_f16 v2, v3, v5
	v_pk_add_f16 v10, v3, v5 neg_lo:[0,1] neg_hi:[0,1]
	v_pk_add_f16 v11, v6, v4
	v_pk_add_f16 v8, v8, v5
	v_pk_fma_f16 v12, v7, 0.5, v0 op_sel_hi:[1,0,1] neg_lo:[1,0,0] neg_hi:[1,0,0]
	v_pk_fma_f16 v13, v2, 0.5, v1 op_sel_hi:[1,0,1] neg_lo:[1,0,0] neg_hi:[1,0,0]
	ds_load_2addr_b32 v[0:1], v237 offset0:104 offset1:194
	ds_load_2addr_b32 v[2:3], v97 offset0:108 offset1:198
	;; [unrolled: 1-line block ×3, first 2 shown]
	s_wait_dscnt 0x1
	v_pk_add_f16 v6, v0, v2
	s_wait_dscnt 0x0
	v_pk_add_f16 v7, v2, v4
	v_pk_add_f16 v14, v1, v3
	v_pk_add_f16 v15, v2, v4 neg_lo:[0,1] neg_hi:[0,1]
	v_pk_add_f16 v2, v3, v5
	v_pk_add_f16 v16, v3, v5 neg_lo:[0,1] neg_hi:[0,1]
	v_pk_add_f16 v17, v6, v4
	v_pk_add_f16 v14, v14, v5
	v_pk_fma_f16 v18, v7, 0.5, v0 op_sel_hi:[1,0,1] neg_lo:[1,0,0] neg_hi:[1,0,0]
	v_pk_fma_f16 v19, v2, 0.5, v1 op_sel_hi:[1,0,1] neg_lo:[1,0,0] neg_hi:[1,0,0]
	ds_load_2addr_b32 v[0:1], v157 offset0:28 offset1:118
	ds_load_2addr_b32 v[2:3], v143 offset0:160 offset1:250
	;; [unrolled: 1-line block ×3, first 2 shown]
	s_wait_dscnt 0x1
	v_pk_add_f16 v6, v0, v2
	s_wait_dscnt 0x0
	v_pk_add_f16 v7, v2, v4
	v_pk_add_f16 v21, v2, v4 neg_lo:[0,1] neg_hi:[0,1]
	v_pk_add_f16 v2, v3, v5
	v_pk_add_f16 v20, v1, v3
	v_pk_add_f16 v22, v3, v5 neg_lo:[0,1] neg_hi:[0,1]
	v_pk_fma_f16 v24, v7, 0.5, v0 op_sel_hi:[1,0,1] neg_lo:[1,0,0] neg_hi:[1,0,0]
	v_pk_add_f16 v23, v6, v4
	v_pk_fma_f16 v25, v2, 0.5, v1 op_sel_hi:[1,0,1] neg_lo:[1,0,0] neg_hi:[1,0,0]
	ds_load_2addr_b32 v[0:1], v165 offset0:80 offset1:170
	ds_load_2addr_b32 v[2:3], v92 offset0:84 offset1:174
	v_pk_add_f16 v20, v20, v5
	ds_load_2addr_b32 v[4:5], v93 offset0:88 offset1:178
	s_wait_dscnt 0x1
	v_pk_add_f16 v6, v0, v2
	v_pk_add_f16 v7, v1, v3
	s_wait_dscnt 0x0
	v_pk_add_f16 v26, v2, v4
	v_pk_add_f16 v27, v2, v4 neg_lo:[0,1] neg_hi:[0,1]
	v_pk_add_f16 v28, v3, v5
	v_pk_add_f16 v29, v3, v5 neg_lo:[0,1] neg_hi:[0,1]
	v_pk_add_f16 v30, v6, v4
	v_pk_add_f16 v31, v7, v5
	ds_load_2addr_b32 v[2:3], v158 offset1:90
	ds_load_2addr_b32 v[4:5], v250 offset0:132 offset1:222
	ds_load_2addr_b32 v[6:7], v163 offset0:8 offset1:98
	global_wb scope:SCOPE_SE
	s_wait_dscnt 0x0
	s_barrier_signal -1
	s_barrier_wait -1
	global_inv scope:SCOPE_SE
	v_pk_fma_f16 v0, v26, 0.5, v0 op_sel_hi:[1,0,1] neg_lo:[1,0,0] neg_hi:[1,0,0]
	v_pk_add_f16 v91, v2, v4
	v_pk_add_f16 v92, v4, v6
	v_pk_add_f16 v4, v4, v6 neg_lo:[0,1] neg_hi:[0,1]
	v_pk_add_f16 v89, v3, v5
	v_pk_add_f16 v90, v5, v7
	v_pk_add_f16 v5, v5, v7 neg_lo:[0,1] neg_hi:[0,1]
	v_pk_fma_f16 v2, v92, 0.5, v2 op_sel_hi:[1,0,1] neg_lo:[1,0,0] neg_hi:[1,0,0]
	v_pk_mul_f16 v4, 0x3aee, v4 op_sel_hi:[0,1]
	v_pk_add_f16 v7, v89, v7
	v_pk_add_f16 v6, v91, v6
	v_pk_fma_f16 v3, v90, 0.5, v3 op_sel_hi:[1,0,1] neg_lo:[1,0,0] neg_hi:[1,0,0]
	s_delay_alu instid0(VALU_DEP_4) | instskip(SKIP_1) | instid1(VALU_DEP_1)
	v_pk_add_f16 v89, v2, v4 op_sel:[0,1] op_sel_hi:[1,0] neg_lo:[0,1] neg_hi:[0,1]
	v_pk_add_f16 v2, v2, v4 op_sel:[0,1] op_sel_hi:[1,0]
	v_bfi_b32 v4, 0xffff, v89, v2
	v_bfi_b32 v2, 0xffff, v2, v89
	scratch_load_b32 v89, off, off offset:248 th:TH_LOAD_LU ; 4-byte Folded Reload
	s_wait_loadcnt 0x0
	ds_store_2addr_b32 v89, v6, v4 offset1:1
	ds_store_b32 v89, v2 offset:8
	v_pk_mul_f16 v2, 0x3aee, v5 op_sel_hi:[0,1]
	s_delay_alu instid0(VALU_DEP_1) | instskip(SKIP_1) | instid1(VALU_DEP_1)
	v_pk_add_f16 v4, v3, v2 op_sel:[0,1] op_sel_hi:[1,0] neg_lo:[0,1] neg_hi:[0,1]
	v_pk_add_f16 v2, v3, v2 op_sel:[0,1] op_sel_hi:[1,0]
	v_bfi_b32 v3, 0xffff, v4, v2
	v_bfi_b32 v2, 0xffff, v2, v4
	scratch_load_b32 v4, off, off offset:256 th:TH_LOAD_LU ; 4-byte Folded Reload
	s_wait_loadcnt 0x0
	ds_store_2addr_b32 v4, v7, v3 offset1:1
	ds_store_b32 v4, v2 offset:8
	v_pk_mul_f16 v2, 0x3aee, v9 op_sel_hi:[0,1]
	s_delay_alu instid0(VALU_DEP_1) | instskip(SKIP_1) | instid1(VALU_DEP_1)
	;; [unrolled: 10-line block ×3, first 2 shown]
	v_pk_add_f16 v3, v13, v2 op_sel:[0,1] op_sel_hi:[1,0] neg_lo:[0,1] neg_hi:[0,1]
	v_pk_add_f16 v2, v13, v2 op_sel:[0,1] op_sel_hi:[1,0]
	v_bfi_b32 v4, 0xffff, v3, v2
	v_bfi_b32 v2, 0xffff, v2, v3
	ds_store_2addr_b32 v168, v8, v4 offset1:1
	ds_store_b32 v168, v2 offset:8
	v_pk_mul_f16 v2, 0x3aee, v15 op_sel_hi:[0,1]
	s_delay_alu instid0(VALU_DEP_1) | instskip(SKIP_1) | instid1(VALU_DEP_1)
	v_pk_add_f16 v3, v18, v2 op_sel:[0,1] op_sel_hi:[1,0] neg_lo:[0,1] neg_hi:[0,1]
	v_pk_add_f16 v2, v18, v2 op_sel:[0,1] op_sel_hi:[1,0]
	v_bfi_b32 v4, 0xffff, v3, v2
	v_bfi_b32 v2, 0xffff, v2, v3
	ds_store_2addr_b32 v145, v17, v4 offset1:1
	ds_store_b32 v145, v2 offset:8
	v_pk_mul_f16 v2, 0x3aee, v16 op_sel_hi:[0,1]
	s_delay_alu instid0(VALU_DEP_1) | instskip(SKIP_1) | instid1(VALU_DEP_1)
	;; [unrolled: 8-line block ×5, first 2 shown]
	v_pk_add_f16 v3, v0, v2 op_sel:[0,1] op_sel_hi:[1,0] neg_lo:[0,1] neg_hi:[0,1]
	v_pk_add_f16 v0, v0, v2 op_sel:[0,1] op_sel_hi:[1,0]
	v_bfi_b32 v2, 0xffff, v3, v0
	v_bfi_b32 v0, 0xffff, v0, v3
	ds_store_2addr_b32 v101, v30, v2 offset1:1
	ds_store_b32 v101, v0 offset:8
	v_pk_fma_f16 v0, v28, 0.5, v1 op_sel_hi:[1,0,1] neg_lo:[1,0,0] neg_hi:[1,0,0]
	v_pk_mul_f16 v1, 0x3aee, v29 op_sel_hi:[0,1]
	s_delay_alu instid0(VALU_DEP_1) | instskip(SKIP_1) | instid1(VALU_DEP_1)
	v_pk_add_f16 v2, v0, v1 op_sel:[0,1] op_sel_hi:[1,0] neg_lo:[0,1] neg_hi:[0,1]
	v_pk_add_f16 v0, v0, v1 op_sel:[0,1] op_sel_hi:[1,0]
	v_bfi_b32 v1, 0xffff, v2, v0
	v_bfi_b32 v0, 0xffff, v0, v2
	ds_store_2addr_b32 v132, v31, v1 offset1:1
	ds_store_b32 v132, v0 offset:8
	global_wb scope:SCOPE_SE
	s_wait_dscnt 0x0
	s_barrier_signal -1
	s_barrier_wait -1
	global_inv scope:SCOPE_SE
	ds_load_2addr_b32 v[89:90], v238 offset0:52 offset1:142
	ds_load_2addr_b32 v[24:25], v158 offset1:90
	s_wait_dscnt 0x1
	v_lshrrev_b32_e32 v0, 16, v90
	v_mul_f16_e32 v1, v105, v90
	s_wait_dscnt 0x0
	v_lshrrev_b32_e32 v127, 16, v24
	s_delay_alu instid0(VALU_DEP_3) | instskip(NEXT) | instid1(VALU_DEP_3)
	v_mul_f16_e32 v101, v105, v0
	v_fma_f16 v105, v44, v0, -v1
	ds_load_2addr_b32 v[0:1], v157 offset0:28 offset1:118
	v_fmac_f16_e32 v101, v44, v90
	s_wait_dscnt 0x0
	v_lshrrev_b32_e32 v2, 16, v0
	v_mul_f16_e32 v3, v121, v0
	s_delay_alu instid0(VALU_DEP_2) | instskip(NEXT) | instid1(VALU_DEP_2)
	v_mul_f16_e64 v168, v121, v2
	v_fma_f16 v162, v45, v2, -v3
	ds_load_2addr_b32 v[2:3], v165 offset0:80 offset1:170
	v_fmac_f16_e64 v168, v45, v0
	s_wait_dscnt 0x0
	v_lshrrev_b32_e32 v4, 16, v3
	v_mul_f16_e32 v5, v118, v3
	s_delay_alu instid0(VALU_DEP_2) | instskip(NEXT) | instid1(VALU_DEP_2)
	v_mul_f16_e32 v121, v118, v4
	v_fma_f16 v118, v46, v4, -v5
	ds_load_2addr_b32 v[4:5], v241 offset0:56 offset1:146
	v_fmac_f16_e32 v121, v46, v3
	v_lshrrev_b32_e32 v3, 16, v1
	s_delay_alu instid0(VALU_DEP_1) | instskip(NEXT) | instid1(VALU_DEP_1)
	v_mul_f16_e32 v91, v119, v3
	v_fmac_f16_e32 v91, v41, v1
	s_wait_dscnt 0x0
	v_lshrrev_b32_e32 v6, 16, v4
	v_mul_f16_e32 v7, v122, v4
	s_delay_alu instid0(VALU_DEP_2) | instskip(NEXT) | instid1(VALU_DEP_2)
	v_mul_f16_e64 v180, v122, v6
	v_fma_f16 v122, v47, v6, -v7
	v_lshrrev_b32_e32 v6, 16, v5
	s_delay_alu instid0(VALU_DEP_3)
	v_fmac_f16_e64 v180, v47, v4
	v_mul_f16_e32 v4, v119, v1
	ds_load_2addr_b32 v[0:1], v237 offset0:104 offset1:194
	v_mul_f16_e32 v96, v102, v6
	v_fma_f16 v47, v41, v3, -v4
	ds_load_2addr_b32 v[3:4], v250 offset0:132 offset1:222
	v_fmac_f16_e32 v96, v43, v5
	v_mul_f16_e32 v5, v102, v5
	s_delay_alu instid0(VALU_DEP_1) | instskip(SKIP_3) | instid1(VALU_DEP_2)
	v_fma_f16 v90, v43, v6, -v5
	s_wait_dscnt 0x1
	v_lshrrev_b32_e32 v7, 16, v0
	v_mul_f16_e64 v8, v129, v0
	v_mul_f16_e64 v45, v129, v7
	s_delay_alu instid0(VALU_DEP_2)
	v_fma_f16 v46, v40, v7, -v8
	s_wait_dscnt 0x0
	v_lshrrev_b32_e32 v7, 16, v3
	v_mul_f16_e64 v8, v128, v3
	v_lshrrev_b32_e32 v5, 16, v4
	v_fmac_f16_e32 v45, v40, v0
	v_lshrrev_b32_e32 v0, 16, v1
	v_mul_f16_e64 v100, v128, v7
	v_fma_f16 v97, v42, v7, -v8
	v_mul_f16_e64 v6, v146, v4
	s_delay_alu instid0(VALU_DEP_4) | instskip(NEXT) | instid1(VALU_DEP_4)
	v_mul_f16_e64 v40, v161, v0
	v_fmac_f16_e32 v100, v42, v3
	v_lshrrev_b32_e32 v3, 16, v2
	v_mul_f16_e64 v42, v146, v5
	v_fma_f16 v43, v112, v5, -v6
	v_fmac_f16_e32 v40, v110, v1
	v_mul_f16_e64 v1, v161, v1
	v_mul_f16_e64 v41, v166, v3
	v_fmac_f16_e32 v42, v112, v4
	s_delay_alu instid0(VALU_DEP_3) | instskip(SKIP_3) | instid1(VALU_DEP_1)
	v_fma_f16 v28, v110, v0, -v1
	ds_load_2addr_b32 v[0:1], v181 offset0:108 offset1:198
	v_fmac_f16_e32 v41, v111, v2
	v_mul_f16_e64 v2, v166, v2
	v_fma_f16 v29, v111, v3, -v2
	s_wait_dscnt 0x0
	v_lshrrev_b32_e32 v2, 16, v0
	v_mul_f16_e64 v3, v167, v0
	s_delay_alu instid0(VALU_DEP_2) | instskip(NEXT) | instid1(VALU_DEP_2)
	v_mul_f16_e64 v44, v167, v2
	v_fma_f16 v30, v113, v2, -v3
	v_mul_f16_e64 v2, v144, v1
	s_delay_alu instid0(VALU_DEP_3) | instskip(SKIP_1) | instid1(VALU_DEP_1)
	v_fmac_f16_e32 v44, v113, v0
	v_lshrrev_b32_e32 v0, 16, v1
	v_mul_f16_e64 v112, v144, v0
	s_delay_alu instid0(VALU_DEP_4) | instskip(NEXT) | instid1(VALU_DEP_2)
	v_fma_f16 v110, v32, v0, -v2
	v_fmac_f16_e32 v112, v32, v1
	ds_load_2addr_b32 v[0:1], v172 offset0:84 offset1:174
	s_wait_dscnt 0x0
	v_lshrrev_b32_e32 v2, 16, v0
	v_mul_f16_e64 v3, v131, v0
	s_delay_alu instid0(VALU_DEP_2) | instskip(NEXT) | instid1(VALU_DEP_2)
	v_mul_f16_e64 v146, v131, v2
	v_fma_f16 v145, v33, v2, -v3
	ds_load_2addr_b32 v[2:3], v163 offset0:8 offset1:98
	v_fmac_f16_e64 v146, v33, v0
	s_delay_alu instid0(VALU_DEP_1) | instskip(SKIP_3) | instid1(VALU_DEP_2)
	v_sub_f16_e64 v11, v180, v146
	s_wait_dscnt 0x0
	v_lshrrev_b32_e32 v4, 16, v3
	v_mul_f16_e64 v5, v159, v3
	v_mul_f16_e64 v113, v159, v4
	s_delay_alu instid0(VALU_DEP_2) | instskip(SKIP_4) | instid1(VALU_DEP_2)
	v_fma_f16 v111, v34, v4, -v5
	ds_load_2addr_b32 v[4:5], v251 offset0:112 offset1:202
	v_fmac_f16_e32 v113, v34, v3
	v_lshrrev_b32_e32 v3, 16, v1
	v_sub_f16_e32 v123, v110, v111
	v_mul_f16_e64 v102, v169, v3
	s_delay_alu instid0(VALU_DEP_1) | instskip(SKIP_3) | instid1(VALU_DEP_2)
	v_fmac_f16_e32 v102, v37, v1
	s_wait_dscnt 0x0
	v_lshrrev_b32_e32 v6, 16, v4
	v_mul_f16_e32 v7, v109, v4
	v_mul_f16_e64 v161, v109, v6
	s_delay_alu instid0(VALU_DEP_2) | instskip(SKIP_1) | instid1(VALU_DEP_3)
	v_fma_f16 v159, v35, v6, -v7
	v_lshrrev_b32_e32 v6, 16, v5
	v_fmac_f16_e64 v161, v35, v4
	v_mul_f16_e64 v4, v169, v1
	ds_load_2addr_b32 v[0:1], v143 offset0:160 offset1:250
	v_mul_f16_e32 v109, v108, v6
	v_sub_f16_e64 v169, v112, v113
	v_sub_f16_e64 v9, v168, v161
	v_fma_f16 v92, v37, v3, -v4
	ds_load_2addr_b32 v[3:4], v98 offset0:60 offset1:150
	v_fmac_f16_e32 v109, v39, v5
	v_mul_f16_e32 v5, v108, v5
	v_add_f16_e64 v13, v168, v161
	v_add_f16_e64 v14, v162, v159
	v_sub_f16_e64 v15, v145, v159
	s_delay_alu instid0(VALU_DEP_4) | instskip(NEXT) | instid1(VALU_DEP_4)
	v_fma_f16 v39, v39, v6, -v5
	v_fma_f16 v13, -0.5, v13, v24
	s_wait_dscnt 0x1
	v_lshrrev_b32_e32 v7, 16, v0
	v_mul_f16_e64 v8, v139, v0
	s_delay_alu instid0(VALU_DEP_2) | instskip(NEXT) | instid1(VALU_DEP_2)
	v_mul_f16_e64 v108, v139, v7
	v_fma_f16 v93, v36, v7, -v8
	s_wait_dscnt 0x0
	v_lshrrev_b32_e32 v7, 16, v3
	v_mul_f16_e32 v8, v99, v3
	v_lshrrev_b32_e32 v5, 16, v4
	v_fmac_f16_e32 v108, v36, v0
	v_lshrrev_b32_e32 v0, 16, v1
	v_mul_f16_e32 v99, v99, v7
	v_fma_f16 v98, v38, v7, -v8
	v_mul_f16_e64 v33, v209, v5
	v_mul_f16_e64 v6, v209, v4
	;; [unrolled: 1-line block ×3, first 2 shown]
	v_fmac_f16_e32 v99, v38, v3
	v_lshrrev_b32_e32 v3, 16, v2
	v_fmac_f16_e64 v33, v149, v4
	v_fma_f16 v36, v149, v5, -v6
	v_fmac_f16_e64 v32, v147, v1
	v_mul_f16_e64 v1, v186, v1
	v_mul_f16_e64 v35, v244, v3
	v_sub_f16_e64 v5, v162, v159
	v_sub_f16_e64 v7, v122, v145
	s_delay_alu instid0(VALU_DEP_4)
	v_fma_f16 v34, v147, v0, -v1
	ds_load_2addr_b32 v[0:1], v174 offset0:36 offset1:126
	v_fmac_f16_e64 v35, v148, v2
	v_mul_f16_e64 v2, v244, v2
	v_fmamk_f16 v16, v7, 0x3b9c, v13
	v_fmac_f16_e32 v13, 0xbb9c, v7
	s_delay_alu instid0(VALU_DEP_3) | instskip(NEXT) | instid1(VALU_DEP_3)
	v_fma_f16 v31, v148, v3, -v2
	v_fmac_f16_e32 v16, 0xb8b4, v5
	s_delay_alu instid0(VALU_DEP_3) | instskip(SKIP_3) | instid1(VALU_DEP_2)
	v_fmac_f16_e32 v13, 0x38b4, v5
	s_wait_dscnt 0x0
	v_lshrrev_b32_e32 v2, 16, v0
	v_mul_f16_e64 v3, v248, v0
	v_mul_f16_e64 v37, v248, v2
	s_delay_alu instid0(VALU_DEP_2) | instskip(SKIP_2) | instid1(VALU_DEP_4)
	v_fma_f16 v26, v150, v2, -v3
	v_mul_f16_e64 v2, v164, v1
	v_add_f16_e32 v3, v105, v118
	v_fmac_f16_e64 v37, v150, v0
	v_lshrrev_b32_e32 v0, 16, v1
	s_delay_alu instid0(VALU_DEP_3) | instskip(NEXT) | instid1(VALU_DEP_2)
	v_add_f16_e32 v3, v3, v110
	v_mul_f16_e64 v131, v164, v0
	v_fma_f16 v38, v160, v0, -v2
	v_sub_f16_e64 v0, v168, v180
	v_add_f16_e32 v2, v101, v121
	v_add_f16_e32 v3, v3, v111
	v_fmac_f16_e64 v131, v160, v1
	v_sub_f16_e64 v1, v161, v146
	v_sub_f16_e32 v125, v118, v38
	v_add_f16_e32 v2, v2, v112
	v_add_f16_e32 v106, v3, v38
	v_sub_f16_e64 v124, v121, v131
	v_add_f16_e32 v27, v0, v1
	v_sub_f16_e64 v0, v162, v122
	v_sub_f16_e64 v1, v159, v145
	v_add_f16_e32 v4, v2, v113
	s_delay_alu instid0(VALU_DEP_2) | instskip(SKIP_2) | instid1(VALU_DEP_4)
	v_add_f16_e64 v132, v0, v1
	v_sub_f16_e32 v0, v121, v112
	v_sub_f16_e64 v1, v131, v113
	v_add_f16_e64 v142, v4, v131
	s_delay_alu instid0(VALU_DEP_2) | instskip(SKIP_2) | instid1(VALU_DEP_1)
	v_add_f16_e64 v141, v0, v1
	v_sub_f16_e32 v0, v118, v110
	v_sub_f16_e32 v1, v38, v111
	v_add_f16_e64 v164, v0, v1
	v_add_f16_e32 v0, v112, v113
	s_delay_alu instid0(VALU_DEP_1) | instskip(SKIP_1) | instid1(VALU_DEP_2)
	v_fma_f16 v144, -0.5, v0, v101
	v_add_f16_e32 v0, v110, v111
	v_fma_f16 v1, 0xbb9c, v125, v144
	s_delay_alu instid0(VALU_DEP_2) | instskip(SKIP_1) | instid1(VALU_DEP_3)
	v_fma_f16 v160, -0.5, v0, v105
	v_fmac_f16_e64 v144, 0x3b9c, v125
	v_fmac_f16_e32 v1, 0xb8b4, v123
	s_delay_alu instid0(VALU_DEP_3) | instskip(SKIP_1) | instid1(VALU_DEP_4)
	v_fma_f16 v0, 0x3b9c, v124, v160
	v_fmac_f16_e64 v160, 0xbb9c, v124
	v_fmac_f16_e64 v144, 0x38b4, v123
	s_delay_alu instid0(VALU_DEP_4) | instskip(NEXT) | instid1(VALU_DEP_4)
	v_fmac_f16_e64 v1, 0x34f2, v141
	v_fmac_f16_e64 v0, 0x38b4, v169
	s_delay_alu instid0(VALU_DEP_4) | instskip(NEXT) | instid1(VALU_DEP_4)
	v_fmac_f16_e64 v160, 0xb8b4, v169
	v_fmac_f16_e64 v144, 0x34f2, v141
	s_delay_alu instid0(VALU_DEP_3) | instskip(NEXT) | instid1(VALU_DEP_3)
	v_fmac_f16_e64 v0, 0x34f2, v164
	v_fmac_f16_e64 v160, 0x34f2, v164
	s_delay_alu instid0(VALU_DEP_2) | instskip(SKIP_2) | instid1(VALU_DEP_3)
	v_mul_f16_e32 v126, 0xb8b4, v0
	v_mul_f16_e64 v133, 0x3a79, v0
	v_add_f16_e64 v0, v24, v168
	v_fmac_f16_e32 v126, 0x3a79, v1
	s_delay_alu instid0(VALU_DEP_3) | instskip(SKIP_1) | instid1(VALU_DEP_4)
	v_fmac_f16_e64 v133, 0x38b4, v1
	v_add_f16_e64 v1, v127, v162
	v_add_f16_e64 v0, v0, v180
	s_delay_alu instid0(VALU_DEP_2) | instskip(NEXT) | instid1(VALU_DEP_2)
	v_add_f16_e32 v1, v1, v122
	v_add_f16_e64 v0, v0, v146
	s_delay_alu instid0(VALU_DEP_2) | instskip(NEXT) | instid1(VALU_DEP_2)
	v_add_f16_e64 v1, v1, v145
	v_add_f16_e64 v134, v0, v161
	s_delay_alu instid0(VALU_DEP_2) | instskip(NEXT) | instid1(VALU_DEP_2)
	v_add_f16_e64 v2, v1, v159
	v_add_f16_e64 v0, v134, v142
	s_delay_alu instid0(VALU_DEP_2) | instskip(SKIP_1) | instid1(VALU_DEP_2)
	v_add_f16_e32 v1, v2, v106
	v_sub_f16_e32 v2, v2, v106
	v_pack_b32_f16 v3, v0, v1
	v_add_f16_e64 v0, v180, v146
	s_delay_alu instid0(VALU_DEP_1) | instskip(SKIP_2) | instid1(VALU_DEP_3)
	v_fma_f16 v4, -0.5, v0, v24
	v_add_f16_e64 v0, v122, v145
	v_sub_f16_e32 v24, v91, v96
	v_fmamk_f16 v6, v5, 0xbb9c, v4
	s_delay_alu instid0(VALU_DEP_3)
	v_fma_f16 v8, -0.5, v0, v127
	v_fmac_f16_e32 v127, -0.5, v14
	v_add_f16_e64 v14, v121, v131
	v_fmac_f16_e32 v4, 0x3b9c, v5
	v_fmac_f16_e32 v6, 0xb8b4, v7
	v_fmamk_f16 v10, v9, 0x3b9c, v8
	v_fmamk_f16 v17, v11, 0xbb9c, v127
	v_fmac_f16_e32 v127, 0x3b9c, v11
	v_fmac_f16_e32 v101, -0.5, v14
	v_fmac_f16_e32 v6, 0x34f2, v27
	v_fmac_f16_e32 v10, 0x38b4, v11
	;; [unrolled: 1-line block ×4, first 2 shown]
	v_sub_f16_e32 v14, v111, v38
	v_add_f16_e32 v0, v6, v126
	v_fmac_f16_e64 v10, 0x34f2, v132
	v_fmac_f16_e32 v8, 0xbb9c, v9
	v_fmac_f16_e32 v4, 0x38b4, v7
	v_mul_f16_e64 v5, 0xb8b4, v160
	v_mul_f16_e64 v7, 0xba79, v160
	v_add_f16_e64 v1, v10, v133
	v_fmac_f16_e32 v8, 0xb8b4, v11
	v_fmac_f16_e32 v4, 0x34f2, v27
	v_fmac_f16_e64 v5, 0xba79, v144
	v_fmac_f16_e64 v7, 0x38b4, v144
	v_pack_b32_f16 v12, v0, v1
	ds_load_2addr_b32 v[0:1], v170 offset0:88 offset1:178
	global_wb scope:SCOPE_SE
	s_wait_dscnt 0x0
	s_barrier_signal -1
	s_barrier_wait -1
	global_inv scope:SCOPE_SE
	ds_store_2addr_b32 v232, v3, v12 offset1:3
	v_sub_f16_e64 v3, v180, v168
	v_sub_f16_e64 v12, v146, v161
	v_fmac_f16_e64 v8, 0x34f2, v132
	v_sub_f16_e64 v9, v134, v142
	v_add_f16_e32 v11, v4, v5
	v_sub_f16_e32 v27, v96, v102
	v_add_f16_e32 v3, v3, v12
	v_sub_f16_e64 v12, v122, v162
	v_pack_b32_f16 v2, v9, v2
	s_delay_alu instid0(VALU_DEP_3) | instskip(SKIP_1) | instid1(VALU_DEP_4)
	v_fmac_f16_e32 v16, 0x34f2, v3
	v_fmac_f16_e32 v13, 0x34f2, v3
	v_add_f16_e32 v3, v12, v15
	v_sub_f16_e32 v12, v112, v121
	v_sub_f16_e64 v15, v113, v131
	s_delay_alu instid0(VALU_DEP_3) | instskip(SKIP_1) | instid1(VALU_DEP_3)
	v_fmac_f16_e32 v17, 0x34f2, v3
	v_fmac_f16_e32 v127, 0x34f2, v3
	v_add_f16_e32 v3, v12, v15
	v_add_f16_e32 v12, v118, v38
	v_fmamk_f16 v15, v123, 0x3b9c, v101
	v_fmac_f16_e32 v101, 0xbb9c, v123
	v_sub_f16_e32 v38, v47, v90
	s_delay_alu instid0(VALU_DEP_4) | instskip(SKIP_3) | instid1(VALU_DEP_2)
	v_fmac_f16_e32 v105, -0.5, v12
	v_sub_f16_e32 v12, v110, v118
	v_fmac_f16_e32 v15, 0xb8b4, v125
	v_fmac_f16_e32 v101, 0x38b4, v125
	;; [unrolled: 1-line block ×3, first 2 shown]
	s_delay_alu instid0(VALU_DEP_2) | instskip(SKIP_3) | instid1(VALU_DEP_2)
	v_fmac_f16_e32 v101, 0x34f2, v3
	v_add_f16_e32 v3, v12, v14
	v_fma_f16 v12, 0xbb9c, v169, v105
	v_fmac_f16_e64 v105, 0x3b9c, v169
	v_fmac_f16_e32 v12, 0x38b4, v124
	s_delay_alu instid0(VALU_DEP_2) | instskip(NEXT) | instid1(VALU_DEP_2)
	v_fmac_f16_e32 v105, 0xb8b4, v124
	v_fmac_f16_e32 v12, 0x34f2, v3
	s_delay_alu instid0(VALU_DEP_2) | instskip(NEXT) | instid1(VALU_DEP_2)
	v_fmac_f16_e32 v105, 0x34f2, v3
	v_mul_f16_e32 v3, 0xbb9c, v12
	v_mul_f16_e32 v12, 0x34f2, v12
	s_delay_alu instid0(VALU_DEP_3) | instskip(NEXT) | instid1(VALU_DEP_3)
	v_mul_f16_e32 v14, 0xbb9c, v105
	v_fmac_f16_e32 v3, 0x34f2, v15
	s_delay_alu instid0(VALU_DEP_3) | instskip(SKIP_1) | instid1(VALU_DEP_4)
	v_fmac_f16_e32 v12, 0x3b9c, v15
	v_mul_f16_e32 v15, 0xb4f2, v105
	v_fmac_f16_e32 v14, 0xb4f2, v101
	s_delay_alu instid0(VALU_DEP_4) | instskip(NEXT) | instid1(VALU_DEP_4)
	v_add_f16_e32 v18, v16, v3
	v_add_f16_e32 v19, v17, v12
	s_delay_alu instid0(VALU_DEP_4)
	v_fmac_f16_e32 v15, 0x3b9c, v101
	v_sub_f16_e32 v3, v16, v3
	v_sub_f16_e32 v9, v17, v12
	v_add_f16_e32 v12, v46, v97
	v_pack_b32_f16 v18, v18, v19
	v_add_f16_e32 v19, v13, v14
	v_add_f16_e32 v20, v127, v15
	v_pack_b32_f16 v3, v3, v9
	v_add_f16_e32 v9, v45, v100
	v_sub_f16_e32 v16, v93, v98
	v_add_f16_e32 v12, v12, v93
	v_pack_b32_f16 v19, v19, v20
	s_delay_alu instid0(VALU_DEP_4) | instskip(NEXT) | instid1(VALU_DEP_3)
	v_add_f16_e32 v9, v9, v108
	v_add_f16_e32 v12, v12, v98
	ds_store_2addr_b32 v232, v18, v19 offset0:6 offset1:9
	v_add_f16_e32 v18, v8, v7
	v_add_f16_e32 v9, v9, v99
	s_delay_alu instid0(VALU_DEP_2) | instskip(SKIP_4) | instid1(VALU_DEP_1)
	v_pack_b32_f16 v11, v11, v18
	v_sub_f16_e32 v18, v108, v99
	ds_store_2addr_b32 v232, v11, v2 offset0:12 offset1:15
	v_sub_f16_e32 v2, v6, v126
	v_sub_f16_e64 v6, v10, v133
	v_pack_b32_f16 v2, v2, v6
	v_add_f16_e32 v6, v25, v91
	ds_store_2addr_b32 v232, v2, v3 offset0:18 offset1:21
	v_sub_f16_e32 v2, v13, v14
	v_sub_f16_e32 v3, v4, v5
	;; [unrolled: 1-line block ×6, first 2 shown]
	v_add_f16_e32 v6, v6, v96
	v_pack_b32_f16 v2, v2, v4
	v_pack_b32_f16 v3, v3, v5
	v_lshrrev_b32_e32 v4, 16, v197
	v_lshrrev_b32_e32 v5, 16, v25
	v_add_f16_e32 v6, v6, v102
	ds_store_2addr_b32 v232, v2, v3 offset0:24 offset1:27
	v_lshrrev_b32_e32 v2, 16, v0
	v_mul_f16_e32 v3, v4, v0
	v_add_f16_e32 v6, v6, v109
	s_delay_alu instid0(VALU_DEP_3) | instskip(NEXT) | instid1(VALU_DEP_3)
	v_mul_f16_e32 v4, v4, v2
	v_fma_f16 v2, v197, v2, -v3
	v_add_f16_e32 v3, v91, v109
	s_delay_alu instid0(VALU_DEP_3) | instskip(SKIP_1) | instid1(VALU_DEP_4)
	v_fmac_f16_e64 v4, v197, v0
	v_add_f16_e32 v0, v96, v102
	v_add_f16_e32 v11, v97, v2
	v_sub_f16_e32 v13, v98, v2
	v_sub_f16_e32 v21, v97, v2
	v_add_f16_e32 v8, v100, v4
	v_fma_f16 v0, -0.5, v0, v25
	v_fmac_f16_e32 v25, -0.5, v3
	v_sub_f16_e32 v3, v96, v91
	v_sub_f16_e32 v10, v99, v4
	;; [unrolled: 1-line block ×4, first 2 shown]
	v_add_f16_e32 v4, v9, v4
	v_add_f16_e32 v3, v3, v7
	;; [unrolled: 1-line block ×3, first 2 shown]
	v_fmamk_f16 v99, v15, 0xbb9c, v0
	v_fmac_f16_e32 v0, 0x3b9c, v15
	s_delay_alu instid0(VALU_DEP_3) | instskip(SKIP_2) | instid1(VALU_DEP_2)
	v_fma_f16 v7, -0.5, v7, v45
	v_fmac_f16_e32 v45, -0.5, v8
	v_sub_f16_e32 v8, v108, v100
	v_fmamk_f16 v17, v16, 0x3b9c, v45
	s_delay_alu instid0(VALU_DEP_2) | instskip(SKIP_2) | instid1(VALU_DEP_4)
	v_add_f16_e32 v8, v8, v10
	v_add_f16_e32 v10, v93, v98
	v_fmac_f16_e32 v45, 0xbb9c, v16
	v_fmac_f16_e32 v17, 0xb8b4, v21
	s_delay_alu instid0(VALU_DEP_3) | instskip(SKIP_4) | instid1(VALU_DEP_4)
	v_fma_f16 v10, -0.5, v10, v46
	v_fmac_f16_e32 v46, -0.5, v11
	v_sub_f16_e32 v11, v93, v97
	v_fmac_f16_e32 v45, 0x38b4, v21
	v_fmac_f16_e32 v17, 0x34f2, v8
	v_fmamk_f16 v19, v18, 0xbb9c, v46
	v_fmac_f16_e32 v46, 0x3b9c, v18
	v_add_f16_e32 v11, v11, v13
	v_sub_f16_e32 v13, v90, v92
	v_fmac_f16_e32 v45, 0x34f2, v8
	v_fmac_f16_e32 v19, 0x38b4, v20
	;; [unrolled: 1-line block ×3, first 2 shown]
	s_delay_alu instid0(VALU_DEP_4) | instskip(SKIP_2) | instid1(VALU_DEP_4)
	v_fmamk_f16 v14, v13, 0x3b9c, v25
	v_fmac_f16_e32 v25, 0xbb9c, v13
	v_fmac_f16_e32 v99, 0xb8b4, v13
	;; [unrolled: 1-line block ×7, first 2 shown]
	v_mul_f16_e32 v22, 0xbb9c, v46
	v_mul_f16_e32 v11, 0xb4f2, v46
	v_fmac_f16_e32 v14, 0x34f2, v3
	v_fmac_f16_e32 v25, 0x34f2, v3
	v_mul_f16_e32 v8, 0x34f2, v19
	v_fmac_f16_e32 v22, 0xb4f2, v45
	v_fmac_f16_e32 v11, 0x3b9c, v45
	v_sub_f16_e32 v15, v34, v36
	s_delay_alu instid0(VALU_DEP_4) | instskip(NEXT) | instid1(VALU_DEP_4)
	v_fmac_f16_e32 v8, 0x3b9c, v17
	v_add_f16_e32 v23, v25, v22
	v_sub_f16_e32 v22, v25, v22
	v_sub_f16_e32 v25, v109, v102
	s_delay_alu instid0(VALU_DEP_1) | instskip(SKIP_2) | instid1(VALU_DEP_3)
	v_add_f16_e32 v24, v24, v25
	v_sub_f16_e32 v25, v91, v109
	v_sub_f16_e32 v91, v39, v92
	v_fmac_f16_e32 v99, 0x34f2, v24
	v_fmac_f16_e32 v0, 0x34f2, v24
	s_delay_alu instid0(VALU_DEP_3) | instskip(SKIP_2) | instid1(VALU_DEP_2)
	v_add_f16_e32 v38, v38, v91
	v_sub_f16_e32 v91, v100, v108
	v_sub_f16_e32 v24, v37, v35
	v_add_f16_e32 v9, v91, v96
	v_sub_f16_e32 v91, v97, v93
	v_sub_f16_e32 v93, v2, v98
	v_add_f16_e32 v2, v12, v2
	v_add_f16_e32 v97, v6, v4
	v_sub_f16_e32 v4, v6, v4
	s_delay_alu instid0(VALU_DEP_4) | instskip(SKIP_4) | instid1(VALU_DEP_4)
	v_add_f16_e32 v12, v91, v93
	v_fmamk_f16 v91, v20, 0x3b9c, v10
	v_fmamk_f16 v93, v21, 0xbb9c, v7
	v_fmac_f16_e32 v10, 0xbb9c, v20
	v_fmac_f16_e32 v7, 0x3b9c, v21
	;; [unrolled: 1-line block ×3, first 2 shown]
	s_delay_alu instid0(VALU_DEP_4) | instskip(NEXT) | instid1(VALU_DEP_4)
	v_fmac_f16_e32 v93, 0xb8b4, v16
	v_fmac_f16_e32 v10, 0xb8b4, v18
	s_delay_alu instid0(VALU_DEP_4) | instskip(NEXT) | instid1(VALU_DEP_4)
	v_fmac_f16_e32 v7, 0x38b4, v16
	v_fmac_f16_e32 v91, 0x34f2, v12
	;; [unrolled: 3-line block ×3, first 2 shown]
	s_delay_alu instid0(VALU_DEP_4) | instskip(NEXT) | instid1(VALU_DEP_4)
	v_fmac_f16_e32 v7, 0x34f2, v9
	v_mul_f16_e32 v96, 0xb8b4, v91
	v_mul_f16_e32 v91, 0x3a79, v91
	s_delay_alu instid0(VALU_DEP_4) | instskip(SKIP_1) | instid1(VALU_DEP_4)
	v_mul_f16_e32 v9, 0xb8b4, v10
	v_mul_f16_e32 v10, 0xba79, v10
	v_fmac_f16_e32 v96, 0x3a79, v93
	s_delay_alu instid0(VALU_DEP_4) | instskip(SKIP_4) | instid1(VALU_DEP_4)
	v_fmac_f16_e32 v91, 0x38b4, v93
	v_add_f16_e32 v93, v5, v47
	v_fmac_f16_e32 v9, 0xba79, v7
	v_fmac_f16_e32 v10, 0x38b4, v7
	v_add_f16_e32 v101, v99, v96
	v_add_f16_e32 v93, v93, v90
	s_delay_alu instid0(VALU_DEP_4) | instskip(SKIP_1) | instid1(VALU_DEP_3)
	v_add_f16_e32 v6, v0, v9
	v_sub_f16_e32 v0, v0, v9
	v_add_f16_e32 v93, v93, v92
	s_delay_alu instid0(VALU_DEP_1) | instskip(NEXT) | instid1(VALU_DEP_1)
	v_add_f16_e32 v93, v93, v39
	v_add_f16_e32 v98, v93, v2
	v_sub_f16_e32 v2, v93, v2
	s_delay_alu instid0(VALU_DEP_2) | instskip(SKIP_1) | instid1(VALU_DEP_3)
	v_pack_b32_f16 v97, v97, v98
	v_add_f16_e32 v98, v90, v92
	v_pack_b32_f16 v2, v4, v2
	s_delay_alu instid0(VALU_DEP_2) | instskip(NEXT) | instid1(VALU_DEP_1)
	v_fma_f16 v98, -0.5, v98, v5
	v_fmamk_f16 v100, v25, 0x3b9c, v98
	v_fmac_f16_e32 v98, 0xbb9c, v25
	s_delay_alu instid0(VALU_DEP_2) | instskip(NEXT) | instid1(VALU_DEP_2)
	v_fmac_f16_e32 v100, 0x38b4, v27
	v_fmac_f16_e32 v98, 0xb8b4, v27
	s_delay_alu instid0(VALU_DEP_2) | instskip(NEXT) | instid1(VALU_DEP_2)
	v_fmac_f16_e32 v100, 0x34f2, v38
	v_fmac_f16_e32 v98, 0x34f2, v38
	s_delay_alu instid0(VALU_DEP_2) | instskip(NEXT) | instid1(VALU_DEP_2)
	v_add_f16_e32 v102, v100, v91
	v_add_f16_e32 v7, v98, v10
	v_sub_f16_e32 v4, v100, v91
	s_delay_alu instid0(VALU_DEP_3) | instskip(NEXT) | instid1(VALU_DEP_3)
	v_pack_b32_f16 v101, v101, v102
	v_pack_b32_f16 v6, v6, v7
	ds_store_2addr_b32 v231, v97, v101 offset1:3
	v_add_f16_e32 v97, v47, v39
	v_sub_f16_e32 v47, v90, v47
	v_sub_f16_e32 v39, v92, v39
	ds_store_2addr_b32 v231, v6, v2 offset0:12 offset1:15
	v_sub_f16_e32 v2, v99, v96
	v_fmac_f16_e32 v5, -0.5, v97
	v_add_f16_e32 v3, v47, v39
	s_delay_alu instid0(VALU_DEP_3) | instskip(NEXT) | instid1(VALU_DEP_3)
	v_pack_b32_f16 v2, v2, v4
	v_fmamk_f16 v39, v27, 0xbb9c, v5
	v_fmac_f16_e32 v5, 0x3b9c, v27
	v_lshrrev_b32_e32 v4, 16, v89
	v_sub_f16_e32 v27, v29, v30
	s_delay_alu instid0(VALU_DEP_4) | instskip(NEXT) | instid1(VALU_DEP_4)
	v_fmac_f16_e32 v39, 0x38b4, v25
	v_fmac_f16_e32 v5, 0xb8b4, v25
	v_sub_f16_e32 v25, v44, v35
	s_delay_alu instid0(VALU_DEP_3) | instskip(NEXT) | instid1(VALU_DEP_3)
	v_fmac_f16_e32 v39, 0x34f2, v3
	v_fmac_f16_e32 v5, 0x34f2, v3
	v_mul_f16_e32 v3, 0xbb9c, v19
	s_delay_alu instid0(VALU_DEP_3) | instskip(SKIP_1) | instid1(VALU_DEP_3)
	v_sub_f16_e32 v6, v39, v8
	v_add_f16_e32 v19, v39, v8
	v_fmac_f16_e32 v3, 0x34f2, v17
	v_add_f16_e32 v8, v40, v42
	s_delay_alu instid0(VALU_DEP_2) | instskip(SKIP_1) | instid1(VALU_DEP_3)
	v_add_f16_e32 v17, v14, v3
	v_sub_f16_e32 v3, v14, v3
	v_add_f16_e32 v8, v8, v32
	v_sub_f16_e32 v14, v29, v26
	s_delay_alu instid0(VALU_DEP_4) | instskip(NEXT) | instid1(VALU_DEP_4)
	v_pack_b32_f16 v17, v17, v19
	v_pack_b32_f16 v3, v3, v6
	v_add_f16_e32 v19, v5, v11
	v_sub_f16_e32 v6, v35, v37
	v_add_f16_e32 v8, v8, v33
	ds_store_2addr_b32 v231, v2, v3 offset0:18 offset1:21
	v_sub_f16_e32 v2, v5, v11
	v_sub_f16_e32 v3, v98, v10
	v_add_f16_e32 v5, v89, v41
	v_pack_b32_f16 v19, v23, v19
	v_add_f16_e32 v11, v28, v43
	v_pack_b32_f16 v2, v22, v2
	v_pack_b32_f16 v0, v0, v3
	v_lshrrev_b32_e32 v3, 16, v182
	ds_store_2addr_b32 v231, v17, v19 offset0:6 offset1:9
	v_sub_f16_e32 v17, v32, v33
	v_add_f16_e32 v11, v11, v34
	ds_store_2addr_b32 v231, v2, v0 offset0:24 offset1:27
	v_lshrrev_b32_e32 v0, 16, v1
	v_add_f16_e32 v5, v5, v44
	v_sub_f16_e32 v23, v41, v44
	v_add_f16_e32 v11, v11, v36
	s_delay_alu instid0(VALU_DEP_4)
	v_mul_f16_e32 v2, v3, v0
	v_mul_f16_e32 v3, v3, v1
	v_add_f16_e32 v5, v5, v35
	v_add_f16_e32 v23, v23, v24
	v_sub_f16_e32 v24, v41, v37
	v_fmac_f16_e64 v2, v182, v1
	v_fma_f16 v0, v182, v0, -v3
	v_add_f16_e32 v1, v44, v35
	v_add_f16_e32 v3, v41, v37
	;; [unrolled: 1-line block ×4, first 2 shown]
	v_sub_f16_e32 v9, v33, v2
	v_fma_f16 v1, -0.5, v1, v89
	v_fmac_f16_e32 v89, -0.5, v3
	v_sub_f16_e32 v3, v44, v41
	v_sub_f16_e32 v19, v42, v2
	v_add_f16_e32 v10, v43, v0
	v_sub_f16_e32 v12, v36, v0
	v_sub_f16_e32 v20, v43, v0
	v_add_f16_e32 v3, v3, v6
	v_add_f16_e32 v6, v32, v33
	v_sub_f16_e32 v33, v2, v33
	v_add_f16_e32 v2, v8, v2
	v_sub_f16_e32 v35, v26, v31
	v_fmamk_f16 v37, v14, 0xbb9c, v1
	v_fma_f16 v6, -0.5, v6, v40
	v_fmac_f16_e32 v40, -0.5, v7
	v_sub_f16_e32 v7, v32, v42
	v_sub_f16_e32 v32, v42, v32
	v_add_f16_e32 v27, v27, v35
	v_add_f16_e32 v35, v5, v2
	v_fmac_f16_e32 v1, 0x3b9c, v14
	v_add_f16_e32 v7, v7, v9
	v_add_f16_e32 v9, v34, v36
	;; [unrolled: 1-line block ×3, first 2 shown]
	v_sub_f16_e32 v32, v43, v34
	v_sub_f16_e32 v33, v0, v36
	v_add_f16_e32 v0, v11, v0
	v_fma_f16 v9, -0.5, v9, v28
	v_fmac_f16_e32 v28, -0.5, v10
	v_sub_f16_e32 v10, v34, v43
	v_add_f16_e32 v11, v32, v33
	v_fmamk_f16 v33, v20, 0xbb9c, v6
	v_fmamk_f16 v32, v19, 0x3b9c, v9
	v_fmac_f16_e32 v9, 0xbb9c, v19
	v_add_f16_e32 v10, v10, v12
	v_sub_f16_e32 v12, v30, v31
	v_fmac_f16_e32 v33, 0xb8b4, v15
	v_fmac_f16_e32 v32, 0x38b4, v17
	;; [unrolled: 1-line block ×7, first 2 shown]
	v_fmamk_f16 v13, v12, 0x3b9c, v89
	v_fmac_f16_e32 v89, 0xbb9c, v12
	v_fmac_f16_e32 v37, 0x34f2, v23
	v_fmamk_f16 v18, v17, 0xbb9c, v28
	v_mul_f16_e32 v34, 0xb8b4, v32
	v_mul_f16_e32 v32, 0x3a79, v32
	v_fmac_f16_e32 v89, 0x38b4, v14
	v_fmac_f16_e32 v13, 0xb8b4, v14
	v_fmac_f16_e32 v6, 0x38b4, v15
	v_fmac_f16_e32 v34, 0x3a79, v33
	v_fmac_f16_e32 v32, 0x38b4, v33
	v_add_f16_e32 v33, v4, v29
	v_fmac_f16_e32 v9, 0x34f2, v11
	v_fmamk_f16 v16, v15, 0x3b9c, v40
	v_add_f16_e32 v39, v37, v34
	v_fmac_f16_e32 v40, 0xbb9c, v15
	v_add_f16_e32 v33, v33, v30
	v_fmac_f16_e32 v89, 0x34f2, v3
	v_fmac_f16_e32 v13, 0x34f2, v3
	;; [unrolled: 1-line block ×4, first 2 shown]
	v_add_f16_e32 v33, v33, v31
	v_fmac_f16_e32 v6, 0x34f2, v8
	v_mul_f16_e32 v8, 0xb8b4, v9
	v_mul_f16_e32 v9, 0xba79, v9
	v_fmac_f16_e32 v28, 0x3b9c, v17
	v_add_f16_e32 v33, v33, v26
	v_fmac_f16_e32 v40, 0x38b4, v20
	v_fmac_f16_e32 v18, 0x34f2, v10
	;; [unrolled: 1-line block ×4, first 2 shown]
	v_add_f16_e32 v36, v33, v0
	v_fmac_f16_e32 v8, 0xba79, v6
	v_fmac_f16_e32 v9, 0x38b4, v6
	;; [unrolled: 1-line block ×4, first 2 shown]
	v_pack_b32_f16 v35, v35, v36
	v_add_f16_e32 v36, v30, v31
	v_fmac_f16_e32 v16, 0x34f2, v7
	v_mul_f16_e32 v7, 0x34f2, v18
	v_sub_f16_e32 v2, v5, v2
	v_sub_f16_e32 v0, v33, v0
	v_fma_f16 v36, -0.5, v36, v4
	v_add_f16_e32 v5, v1, v8
	v_fmac_f16_e32 v28, 0x34f2, v10
	v_fmac_f16_e32 v7, 0x3b9c, v16
	v_pack_b32_f16 v0, v2, v0
	v_fmamk_f16 v38, v24, 0x3b9c, v36
	v_fmac_f16_e32 v36, 0xbb9c, v24
	v_mul_f16_e32 v21, 0xbb9c, v28
	v_mul_f16_e32 v10, 0xb4f2, v28
	v_lshrrev_b32_e32 v12, 16, v135
	v_fmac_f16_e32 v38, 0x38b4, v25
	v_fmac_f16_e32 v36, 0xb8b4, v25
	;; [unrolled: 1-line block ×4, first 2 shown]
	s_delay_alu instid0(VALU_DEP_4) | instskip(NEXT) | instid1(VALU_DEP_4)
	v_fmac_f16_e32 v38, 0x34f2, v27
	v_fmac_f16_e32 v36, 0x34f2, v27
	s_delay_alu instid0(VALU_DEP_4) | instskip(SKIP_1) | instid1(VALU_DEP_4)
	v_add_f16_e32 v22, v89, v21
	v_sub_f16_e32 v21, v89, v21
	v_add_f16_e32 v41, v38, v32
	s_delay_alu instid0(VALU_DEP_4) | instskip(NEXT) | instid1(VALU_DEP_2)
	v_add_f16_e32 v6, v36, v9
	v_pack_b32_f16 v39, v39, v41
	s_delay_alu instid0(VALU_DEP_2)
	v_pack_b32_f16 v5, v5, v6
	ds_store_2addr_b32 v228, v35, v39 offset1:3
	v_add_f16_e32 v35, v29, v26
	v_sub_f16_e32 v29, v30, v29
	v_sub_f16_e32 v26, v31, v26
	ds_store_2addr_b32 v228, v5, v0 offset0:12 offset1:15
	v_sub_f16_e32 v0, v37, v34
	v_fmac_f16_e32 v4, -0.5, v35
	v_add_f16_e32 v3, v29, v26
	s_delay_alu instid0(VALU_DEP_2) | instskip(SKIP_1) | instid1(VALU_DEP_2)
	v_fmamk_f16 v26, v25, 0xbb9c, v4
	v_fmac_f16_e32 v4, 0x3b9c, v25
	v_fmac_f16_e32 v26, 0x38b4, v24
	s_delay_alu instid0(VALU_DEP_2) | instskip(NEXT) | instid1(VALU_DEP_2)
	v_fmac_f16_e32 v4, 0xb8b4, v24
	v_fmac_f16_e32 v26, 0x34f2, v3
	s_delay_alu instid0(VALU_DEP_2) | instskip(SKIP_1) | instid1(VALU_DEP_3)
	v_fmac_f16_e32 v4, 0x34f2, v3
	v_mul_f16_e32 v3, 0xbb9c, v18
	v_sub_f16_e32 v5, v26, v7
	v_add_f16_e32 v18, v26, v7
	s_delay_alu instid0(VALU_DEP_3) | instskip(NEXT) | instid1(VALU_DEP_1)
	v_fmac_f16_e32 v3, 0x34f2, v16
	v_add_f16_e32 v16, v13, v3
	v_sub_f16_e32 v2, v13, v3
	v_sub_f16_e32 v3, v38, v32
	s_delay_alu instid0(VALU_DEP_3) | instskip(NEXT) | instid1(VALU_DEP_3)
	v_pack_b32_f16 v16, v16, v18
	v_pack_b32_f16 v2, v2, v5
	s_delay_alu instid0(VALU_DEP_3)
	v_pack_b32_f16 v0, v0, v3
	v_add_f16_e32 v18, v4, v10
	ds_store_2addr_b32 v228, v0, v2 offset0:18 offset1:21
	v_sub_f16_e32 v0, v1, v8
	v_sub_f16_e32 v1, v4, v10
	v_sub_f16_e32 v2, v36, v9
	v_pack_b32_f16 v18, v22, v18
	v_lshrrev_b32_e32 v9, 16, v114
	s_delay_alu instid0(VALU_DEP_4) | instskip(NEXT) | instid1(VALU_DEP_4)
	v_pack_b32_f16 v1, v21, v1
	v_pack_b32_f16 v0, v0, v2
	ds_store_2addr_b32 v228, v16, v18 offset0:6 offset1:9
	ds_store_2addr_b32 v228, v1, v0 offset0:24 offset1:27
	global_wb scope:SCOPE_SE
	s_wait_dscnt 0x0
	s_barrier_signal -1
	s_barrier_wait -1
	global_inv scope:SCOPE_SE
	ds_load_2addr_b32 v[24:25], v238 offset0:52 offset1:142
	s_wait_dscnt 0x0
	v_lshrrev_b32_e32 v0, 16, v25
	v_mul_f16_e64 v1, v252, v25
	s_delay_alu instid0(VALU_DEP_2) | instskip(NEXT) | instid1(VALU_DEP_2)
	v_mul_f16_e64 v30, v252, v0
	v_fma_f16 v31, v77, v0, -v1
	ds_load_2addr_b32 v[0:1], v157 offset0:28 offset1:118
	v_fmac_f16_e32 v30, v77, v25
	s_wait_dscnt 0x0
	v_lshrrev_b32_e32 v2, 16, v0
	v_mul_f16_e64 v3, v254, v0
	s_delay_alu instid0(VALU_DEP_2) | instskip(NEXT) | instid1(VALU_DEP_2)
	v_mul_f16_e64 v42, v254, v2
	v_fma_f16 v40, v78, v2, -v3
	ds_load_2addr_b32 v[2:3], v165 offset0:80 offset1:170
	v_fmac_f16_e32 v42, v78, v0
	s_wait_dscnt 0x0
	v_lshrrev_b32_e32 v4, 16, v3
	v_mul_f16_e32 v5, v107, v3
	s_delay_alu instid0(VALU_DEP_2) | instskip(NEXT) | instid1(VALU_DEP_2)
	v_mul_f16_e32 v38, v107, v4
	v_fma_f16 v34, v79, v4, -v5
	ds_load_2addr_b32 v[4:5], v241 offset0:56 offset1:146
	v_fmac_f16_e32 v38, v79, v3
	v_lshrrev_b32_e32 v3, 16, v1
	s_delay_alu instid0(VALU_DEP_2) | instskip(NEXT) | instid1(VALU_DEP_2)
	v_add_f16_e32 v79, v30, v38
	v_mul_f16_e64 v25, v151, v3
	s_delay_alu instid0(VALU_DEP_1) | instskip(SKIP_3) | instid1(VALU_DEP_2)
	v_fmac_f16_e32 v25, v115, v1
	s_wait_dscnt 0x0
	v_lshrrev_b32_e32 v6, 16, v4
	v_mul_f16_e64 v7, v255, v4
	v_mul_f16_e64 v44, v255, v6
	s_delay_alu instid0(VALU_DEP_2) | instskip(SKIP_1) | instid1(VALU_DEP_3)
	v_fma_f16 v43, v80, v6, -v7
	v_lshrrev_b32_e32 v6, 16, v5
	v_fmac_f16_e32 v44, v80, v4
	v_mul_f16_e64 v4, v151, v1
	ds_load_2addr_b32 v[0:1], v237 offset0:104 offset1:194
	v_mul_f16_e32 v27, v103, v6
	v_add_f16_e32 v80, v31, v34
	v_fma_f16 v28, v115, v3, -v4
	ds_load_2addr_b32 v[3:4], v250 offset0:132 offset1:222
	v_fmac_f16_e32 v27, v117, v5
	v_mul_f16_e32 v5, v103, v5
	s_delay_alu instid0(VALU_DEP_1)
	v_fma_f16 v29, v117, v6, -v5
	v_lshrrev_b32_e32 v5, 16, v234
	v_lshrrev_b32_e32 v6, 16, v235
	s_wait_dscnt 0x1
	v_lshrrev_b32_e32 v7, 16, v0
	v_mul_f16_e32 v8, v9, v0
	s_delay_alu instid0(VALU_DEP_2) | instskip(NEXT) | instid1(VALU_DEP_2)
	v_mul_f16_e32 v21, v9, v7
	v_fma_f16 v22, v114, v7, -v8
	s_wait_dscnt 0x0
	v_lshrrev_b32_e32 v7, 16, v3
	v_mul_f16_e64 v8, v219, v3
	v_lshrrev_b32_e32 v9, 16, v155
	v_fmac_f16_e32 v21, v114, v0
	v_lshrrev_b32_e32 v0, 16, v1
	v_mul_f16_e64 v26, v219, v7
	v_fma_f16 v23, v116, v7, -v8
	v_lshrrev_b32_e32 v7, 16, v154
	s_delay_alu instid0(VALU_DEP_3) | instskip(SKIP_1) | instid1(VALU_DEP_1)
	v_fmac_f16_e32 v26, v116, v3
	v_lshrrev_b32_e32 v3, 16, v233
	v_mul_f16_e32 v16, v3, v0
	s_delay_alu instid0(VALU_DEP_1) | instskip(SKIP_2) | instid1(VALU_DEP_1)
	v_fmac_f16_e64 v16, v233, v1
	v_mul_f16_e32 v1, v3, v1
	v_lshrrev_b32_e32 v3, 16, v2
	v_mul_f16_e32 v18, v5, v3
	s_delay_alu instid0(VALU_DEP_1) | instskip(SKIP_2) | instid1(VALU_DEP_2)
	v_fmac_f16_e64 v18, v234, v2
	v_mul_f16_e32 v2, v5, v2
	v_lshrrev_b32_e32 v5, 16, v4
	v_fma_f16 v19, v234, v3, -v2
	s_delay_alu instid0(VALU_DEP_2) | instskip(SKIP_1) | instid1(VALU_DEP_2)
	v_mul_f16_e32 v17, v6, v5
	v_mul_f16_e32 v6, v6, v4
	v_fmac_f16_e64 v17, v235, v4
	v_fma_f16 v4, v233, v0, -v1
	ds_load_2addr_b32 v[0:1], v181 offset0:108 offset1:198
	v_fma_f16 v5, v235, v5, -v6
	v_lshrrev_b32_e32 v6, 16, v236
	s_wait_dscnt 0x0
	v_lshrrev_b32_e32 v2, 16, v0
	s_delay_alu instid0(VALU_DEP_2) | instskip(NEXT) | instid1(VALU_DEP_2)
	v_mul_f16_e32 v3, v6, v0
	v_mul_f16_e32 v20, v6, v2
	s_delay_alu instid0(VALU_DEP_2) | instskip(SKIP_1) | instid1(VALU_DEP_3)
	v_fma_f16 v6, v236, v2, -v3
	v_lshrrev_b32_e32 v2, 16, v153
	v_fmac_f16_e64 v20, v236, v0
	v_lshrrev_b32_e32 v0, 16, v1
	s_delay_alu instid0(VALU_DEP_1) | instskip(SKIP_1) | instid1(VALU_DEP_2)
	v_mul_f16_e32 v47, v2, v0
	v_mul_f16_e32 v2, v2, v1
	v_fmac_f16_e64 v47, v153, v1
	s_delay_alu instid0(VALU_DEP_2)
	v_fma_f16 v45, v153, v0, -v2
	ds_load_2addr_b32 v[0:1], v172 offset0:84 offset1:174
	v_add_f16_e32 v79, v79, v47
	v_add_f16_e32 v80, v80, v45
	s_wait_dscnt 0x0
	v_lshrrev_b32_e32 v2, 16, v0
	v_mul_f16_e32 v3, v7, v0
	s_delay_alu instid0(VALU_DEP_2) | instskip(NEXT) | instid1(VALU_DEP_2)
	v_mul_f16_e32 v91, v7, v2
	v_fma_f16 v90, v154, v2, -v3
	ds_load_2addr_b32 v[2:3], v163 offset0:8 offset1:98
	v_fmac_f16_e64 v91, v154, v0
	v_lshrrev_b32_e32 v0, 16, v136
	s_delay_alu instid0(VALU_DEP_2) | instskip(SKIP_3) | instid1(VALU_DEP_2)
	v_sub_f16_e32 v116, v44, v91
	s_wait_dscnt 0x0
	v_lshrrev_b32_e32 v7, 16, v3
	v_mul_f16_e32 v8, v9, v3
	v_mul_f16_e32 v89, v9, v7
	s_delay_alu instid0(VALU_DEP_2)
	v_fma_f16 v46, v155, v7, -v8
	ds_load_2addr_b32 v[7:8], v251 offset0:112 offset1:202
	v_fmac_f16_e64 v89, v155, v3
	v_lshrrev_b32_e32 v3, 16, v1
	v_sub_f16_e32 v105, v45, v46
	v_add_f16_e32 v80, v80, v46
	s_delay_alu instid0(VALU_DEP_4) | instskip(NEXT) | instid1(VALU_DEP_4)
	v_sub_f16_e32 v102, v47, v89
	v_mul_f16_e32 v36, v0, v3
	v_add_f16_e32 v79, v79, v89
	s_delay_alu instid0(VALU_DEP_2) | instskip(SKIP_3) | instid1(VALU_DEP_2)
	v_fmac_f16_e64 v36, v136, v1
	s_wait_dscnt 0x0
	v_lshrrev_b32_e32 v9, 16, v7
	v_mul_f16_e32 v10, v94, v7
	v_mul_f16_e32 v93, v94, v9
	s_delay_alu instid0(VALU_DEP_2) | instskip(SKIP_2) | instid1(VALU_DEP_4)
	v_fma_f16 v92, v156, v9, -v10
	v_lshrrev_b32_e32 v9, 16, v8
	v_mul_f16_e32 v10, v104, v8
	v_fmac_f16_e64 v93, v156, v7
	v_mul_f16_e32 v7, v0, v1
	ds_load_2addr_b32 v[0:1], v143 offset0:160 offset1:250
	v_mul_f16_e32 v39, v104, v9
	v_fma_f16 v15, v138, v9, -v10
	v_lshrrev_b32_e32 v9, 16, v193
	v_fma_f16 v41, v136, v3, -v7
	v_sub_f16_e32 v94, v40, v92
	v_fmac_f16_e64 v39, v138, v8
	v_sub_f16_e32 v114, v42, v93
	v_sub_f16_e32 v104, v43, v90
	s_wait_dscnt 0x0
	v_lshrrev_b32_e32 v8, 16, v0
	v_mul_f16_e32 v11, v12, v0
	s_delay_alu instid0(VALU_DEP_2) | instskip(NEXT) | instid1(VALU_DEP_2)
	v_mul_f16_e32 v35, v12, v8
	v_fma_f16 v32, v135, v8, -v11
	ds_load_2addr_b32 v[7:8], v198 offset0:60 offset1:150
	v_fmac_f16_e64 v35, v135, v0
	v_lshrrev_b32_e32 v0, 16, v1
	s_wait_dscnt 0x0
	v_lshrrev_b32_e32 v3, 16, v7
	v_mul_f16_e64 v11, v152, v7
	v_lshrrev_b32_e32 v12, 16, v8
	s_delay_alu instid0(VALU_DEP_3) | instskip(NEXT) | instid1(VALU_DEP_3)
	v_mul_f16_e64 v37, v152, v3
	v_fma_f16 v33, v137, v3, -v11
	v_lshrrev_b32_e32 v3, 16, v192
	v_lshrrev_b32_e32 v11, 16, v194
	s_delay_alu instid0(VALU_DEP_4) | instskip(NEXT) | instid1(VALU_DEP_3)
	v_fmac_f16_e64 v37, v137, v7
	v_mul_f16_e32 v7, v3, v0
	s_delay_alu instid0(VALU_DEP_3) | instskip(NEXT) | instid1(VALU_DEP_2)
	v_mul_f16_e32 v13, v11, v8
	v_fmac_f16_e64 v7, v192, v1
	v_mul_f16_e32 v1, v3, v1
	v_lshrrev_b32_e32 v3, 16, v2
	s_delay_alu instid0(VALU_DEP_1) | instskip(NEXT) | instid1(VALU_DEP_1)
	v_mul_f16_e32 v10, v9, v3
	v_fmac_f16_e64 v10, v193, v2
	v_mul_f16_e32 v2, v9, v2
	v_mul_f16_e32 v9, v11, v12
	s_delay_alu instid0(VALU_DEP_2) | instskip(NEXT) | instid1(VALU_DEP_2)
	v_fma_f16 v11, v193, v3, -v2
	v_fmac_f16_e64 v9, v194, v8
	v_fma_f16 v8, v192, v0, -v1
	ds_load_2addr_b32 v[0:1], v174 offset0:36 offset1:126
	v_fma_f16 v2, v194, v12, -v13
	v_lshrrev_b32_e32 v13, 16, v195
	s_wait_dscnt 0x0
	v_lshrrev_b32_e32 v3, 16, v0
	s_delay_alu instid0(VALU_DEP_2) | instskip(NEXT) | instid1(VALU_DEP_2)
	v_mul_f16_e32 v12, v13, v0
	v_mul_f16_e32 v13, v13, v3
	s_delay_alu instid0(VALU_DEP_2) | instskip(SKIP_1) | instid1(VALU_DEP_3)
	v_fma_f16 v12, v195, v3, -v12
	v_lshrrev_b32_e32 v3, 16, v211
	v_fmac_f16_e64 v13, v195, v0
	v_lshrrev_b32_e32 v0, 16, v1
	s_delay_alu instid0(VALU_DEP_1) | instskip(SKIP_1) | instid1(VALU_DEP_2)
	v_mul_f16_e32 v96, v3, v0
	v_mul_f16_e32 v3, v3, v1
	v_fmac_f16_e64 v96, v211, v1
	s_delay_alu instid0(VALU_DEP_2) | instskip(SKIP_2) | instid1(VALU_DEP_4)
	v_fma_f16 v14, v211, v0, -v3
	v_sub_f16_e32 v0, v42, v44
	v_sub_f16_e32 v1, v93, v91
	;; [unrolled: 1-line block ×3, first 2 shown]
	s_delay_alu instid0(VALU_DEP_4) | instskip(SKIP_1) | instid1(VALU_DEP_4)
	v_sub_f16_e32 v109, v34, v14
	v_add_f16_e32 v106, v79, v96
	v_add_f16_e32 v3, v0, v1
	v_sub_f16_e32 v0, v40, v43
	v_sub_f16_e32 v1, v92, v90
	v_add_f16_e32 v121, v80, v14
	s_delay_alu instid0(VALU_DEP_2) | instskip(SKIP_2) | instid1(VALU_DEP_1)
	v_add_f16_e32 v97, v0, v1
	v_sub_f16_e32 v0, v38, v47
	v_sub_f16_e32 v1, v96, v89
	v_add_f16_e32 v98, v0, v1
	v_sub_f16_e32 v0, v34, v45
	v_sub_f16_e32 v1, v14, v46
	s_delay_alu instid0(VALU_DEP_1) | instskip(SKIP_1) | instid1(VALU_DEP_1)
	v_add_f16_e32 v101, v0, v1
	v_add_f16_e32 v0, v47, v89
	v_fma_f16 v99, -0.5, v0, v30
	v_add_f16_e32 v0, v45, v46
	s_delay_alu instid0(VALU_DEP_2) | instskip(NEXT) | instid1(VALU_DEP_2)
	v_fmamk_f16 v1, v109, 0xbb9c, v99
	v_fma_f16 v100, -0.5, v0, v31
	v_fmac_f16_e32 v99, 0x3b9c, v109
	s_delay_alu instid0(VALU_DEP_3) | instskip(NEXT) | instid1(VALU_DEP_3)
	v_fmac_f16_e32 v1, 0xb8b4, v105
	v_fmamk_f16 v0, v108, 0x3b9c, v100
	v_fmac_f16_e32 v100, 0xbb9c, v108
	s_delay_alu instid0(VALU_DEP_4) | instskip(NEXT) | instid1(VALU_DEP_4)
	v_fmac_f16_e32 v99, 0x38b4, v105
	v_fmac_f16_e32 v1, 0x34f2, v98
	s_delay_alu instid0(VALU_DEP_4) | instskip(NEXT) | instid1(VALU_DEP_4)
	v_fmac_f16_e32 v0, 0x38b4, v102
	v_fmac_f16_e32 v100, 0xb8b4, v102
	s_delay_alu instid0(VALU_DEP_4) | instskip(SKIP_1) | instid1(VALU_DEP_4)
	v_fmac_f16_e32 v99, 0x34f2, v98
	v_sub_f16_e32 v98, v25, v39
	v_fmac_f16_e32 v0, 0x34f2, v101
	s_delay_alu instid0(VALU_DEP_4) | instskip(NEXT) | instid1(VALU_DEP_2)
	v_fmac_f16_e32 v100, 0x34f2, v101
	v_mul_f16_e32 v110, 0xb8b4, v0
	v_mul_f16_e32 v112, 0x3a79, v0
	s_delay_alu instid0(VALU_DEP_2) | instskip(NEXT) | instid1(VALU_DEP_2)
	v_fmac_f16_e32 v110, 0x3a79, v1
	v_fmac_f16_e32 v112, 0x38b4, v1
	ds_load_2addr_b32 v[0:1], v158 offset1:90
	s_wait_dscnt 0x0
	v_lshrrev_b32_e32 v111, 16, v0
	v_add_f16_e32 v77, v0, v42
	s_delay_alu instid0(VALU_DEP_2) | instskip(NEXT) | instid1(VALU_DEP_2)
	v_add_f16_e32 v78, v111, v40
	v_add_f16_e32 v77, v77, v44
	s_delay_alu instid0(VALU_DEP_2) | instskip(NEXT) | instid1(VALU_DEP_2)
	v_add_f16_e32 v78, v78, v43
	;; [unrolled: 3-line block ×4, first 2 shown]
	v_add_f16_e32 v77, v113, v106
	s_delay_alu instid0(VALU_DEP_2) | instskip(NEXT) | instid1(VALU_DEP_1)
	v_add_f16_e32 v78, v118, v121
	v_pack_b32_f16 v79, v77, v78
	v_add_f16_e32 v77, v44, v91
	v_sub_f16_e32 v44, v44, v42
	v_add_f16_e32 v42, v42, v93
	s_delay_alu instid0(VALU_DEP_3)
	v_fma_f16 v80, -0.5, v77, v0
	v_add_f16_e32 v77, v43, v90
	v_sub_f16_e32 v43, v43, v40
	v_add_f16_e32 v40, v40, v92
	v_fma_f16 v0, -0.5, v42, v0
	v_fmamk_f16 v103, v94, 0xbb9c, v80
	v_fma_f16 v107, -0.5, v77, v111
	v_fmac_f16_e32 v80, 0x3b9c, v94
	v_fmac_f16_e32 v111, -0.5, v40
	v_fmamk_f16 v42, v104, 0x3b9c, v0
	v_fmac_f16_e32 v103, 0xb8b4, v104
	v_fmamk_f16 v115, v114, 0x3b9c, v107
	v_fmac_f16_e32 v0, 0xbb9c, v104
	v_fmac_f16_e32 v107, 0xbb9c, v114
	v_fmac_f16_e32 v42, 0xb8b4, v94
	v_fmac_f16_e32 v103, 0x34f2, v3
	v_fmac_f16_e32 v115, 0x38b4, v116
	v_fmac_f16_e32 v0, 0x38b4, v94
	v_fmac_f16_e32 v80, 0x38b4, v104
	v_fmac_f16_e32 v107, 0xb8b4, v116
	v_add_f16_e32 v77, v103, v110
	v_fmac_f16_e32 v115, 0x34f2, v97
	s_delay_alu instid0(VALU_DEP_4) | instskip(SKIP_2) | instid1(VALU_DEP_4)
	v_fmac_f16_e32 v80, 0x34f2, v3
	v_mul_f16_e32 v3, 0xb8b4, v100
	v_fmac_f16_e32 v107, 0x34f2, v97
	v_add_f16_e32 v78, v115, v112
	v_add_f16_e32 v97, v29, v41
	s_delay_alu instid0(VALU_DEP_4) | instskip(NEXT) | instid1(VALU_DEP_3)
	v_fmac_f16_e32 v3, 0xba79, v99
	v_pack_b32_f16 v117, v77, v78
	ds_load_2addr_b32 v[77:78], v170 offset0:88 offset1:178
	global_wb scope:SCOPE_SE
	s_wait_dscnt 0x0
	s_barrier_signal -1
	s_barrier_wait -1
	global_inv scope:SCOPE_SE
	ds_store_2addr_b32 v176, v79, v117 offset1:30
	v_sub_f16_e32 v79, v91, v93
	v_sub_f16_e32 v93, v28, v15
	s_delay_alu instid0(VALU_DEP_2) | instskip(SKIP_2) | instid1(VALU_DEP_3)
	v_add_f16_e32 v44, v44, v79
	v_sub_f16_e32 v79, v90, v92
	v_add_f16_e32 v90, v22, v23
	v_fmac_f16_e32 v42, 0x34f2, v44
	s_delay_alu instid0(VALU_DEP_3)
	v_add_f16_e32 v40, v43, v79
	v_sub_f16_e32 v43, v47, v38
	v_fmamk_f16 v47, v116, 0xbb9c, v111
	v_fmac_f16_e32 v111, 0x3b9c, v116
	v_add_f16_e32 v38, v38, v96
	v_fmac_f16_e32 v0, 0x34f2, v44
	v_sub_f16_e32 v44, v89, v96
	v_fmac_f16_e32 v47, 0x38b4, v114
	v_fmac_f16_e32 v111, 0xb8b4, v114
	v_fmac_f16_e32 v30, -0.5, v38
	v_lshrrev_b32_e32 v79, 16, v1
	v_add_f16_e32 v38, v43, v44
	v_fmac_f16_e32 v47, 0x34f2, v40
	v_fmac_f16_e32 v111, 0x34f2, v40
	v_add_f16_e32 v40, v34, v14
	v_sub_f16_e32 v34, v45, v34
	v_sub_f16_e32 v14, v46, v14
	v_add_f16_e32 v44, v80, v3
	v_sub_f16_e32 v3, v80, v3
	v_fmac_f16_e32 v31, -0.5, v40
	v_fmamk_f16 v40, v105, 0x3b9c, v30
	v_add_f16_e32 v14, v34, v14
	v_fmac_f16_e32 v30, 0xbb9c, v105
	v_add_f16_e32 v80, v79, v28
	v_fmamk_f16 v34, v102, 0xbb9c, v31
	v_fmac_f16_e32 v31, 0x3b9c, v102
	v_fmac_f16_e32 v40, 0xb8b4, v109
	;; [unrolled: 1-line block ×3, first 2 shown]
	v_add_f16_e32 v89, v21, v26
	v_fmac_f16_e32 v34, 0x38b4, v108
	v_fmac_f16_e32 v31, 0xb8b4, v108
	;; [unrolled: 1-line block ×4, first 2 shown]
	v_add_f16_e32 v80, v80, v29
	v_fmac_f16_e32 v34, 0x34f2, v14
	v_fmac_f16_e32 v31, 0x34f2, v14
	v_add_f16_e32 v89, v89, v35
	v_add_f16_e32 v90, v90, v32
	v_add_f16_e32 v80, v80, v41
	v_mul_f16_e32 v14, 0xbb9c, v34
	v_mul_f16_e32 v34, 0x34f2, v34
	;; [unrolled: 1-line block ×4, first 2 shown]
	v_add_f16_e32 v89, v89, v37
	v_fmac_f16_e32 v14, 0x34f2, v40
	v_fmac_f16_e32 v34, 0x3b9c, v40
	;; [unrolled: 1-line block ×4, first 2 shown]
	v_add_f16_e32 v90, v90, v33
	v_add_f16_e32 v30, v42, v14
	;; [unrolled: 1-line block ×3, first 2 shown]
	v_sub_f16_e32 v14, v42, v14
	v_add_f16_e32 v43, v111, v31
	v_sub_f16_e32 v42, v115, v112
	v_sub_f16_e32 v34, v47, v34
	v_pack_b32_f16 v30, v30, v40
	v_add_f16_e32 v40, v0, v38
	v_sub_f16_e32 v0, v0, v38
	v_sub_f16_e32 v47, v32, v33
	v_pack_b32_f16 v14, v14, v34
	v_add_f16_e32 v80, v80, v15
	v_pack_b32_f16 v40, v40, v43
	v_sub_f16_e32 v43, v118, v121
	v_sub_f16_e32 v96, v29, v41
	v_fma_f16 v97, -0.5, v97, v79
	ds_store_2addr_b32 v176, v30, v40 offset0:60 offset1:90
	v_mul_f16_e32 v30, 0xba79, v100
	v_sub_f16_e32 v40, v113, v106
	v_sub_f16_e32 v100, v27, v36
	s_delay_alu instid0(VALU_DEP_3) | instskip(NEXT) | instid1(VALU_DEP_3)
	v_fmac_f16_e32 v30, 0x38b4, v99
	v_pack_b32_f16 v40, v40, v43
	v_fmamk_f16 v99, v98, 0x3b9c, v97
	v_fmac_f16_e32 v97, 0xbb9c, v98
	s_delay_alu instid0(VALU_DEP_4) | instskip(SKIP_1) | instid1(VALU_DEP_4)
	v_add_f16_e32 v45, v107, v30
	v_sub_f16_e32 v30, v107, v30
	v_fmac_f16_e32 v99, 0x38b4, v100
	s_delay_alu instid0(VALU_DEP_4) | instskip(NEXT) | instid1(VALU_DEP_4)
	v_fmac_f16_e32 v97, 0xb8b4, v100
	v_pack_b32_f16 v44, v44, v45
	s_delay_alu instid0(VALU_DEP_4) | instskip(SKIP_4) | instid1(VALU_DEP_2)
	v_pack_b32_f16 v3, v3, v30
	v_sub_f16_e32 v30, v39, v36
	ds_store_2addr_b32 v176, v44, v40 offset0:120 offset1:150
	v_sub_f16_e32 v40, v103, v110
	v_sub_f16_e32 v44, v35, v37
	v_pack_b32_f16 v40, v40, v42
	ds_store_2addr_b32 v176, v40, v14 offset0:180 offset1:210
	v_sub_f16_e32 v14, v111, v31
	v_sub_f16_e32 v31, v15, v41
	v_add_f16_e32 v40, v32, v33
	s_delay_alu instid0(VALU_DEP_3)
	v_pack_b32_f16 v0, v0, v14
	scratch_load_b32 v14, off, off offset:268 th:TH_LOAD_LU ; 4-byte Folded Reload
	v_fma_f16 v40, -0.5, v40, v22
	s_wait_loadcnt 0x0
	ds_store_2addr_b32 v14, v0, v3 offset0:112 offset1:142
	v_lshrrev_b32_e32 v14, 16, v173
	v_lshrrev_b32_e32 v0, 16, v77
	s_delay_alu instid0(VALU_DEP_2) | instskip(NEXT) | instid1(VALU_DEP_2)
	v_mul_f16_e32 v3, v14, v77
	v_mul_f16_e32 v14, v14, v0
	s_delay_alu instid0(VALU_DEP_2) | instskip(SKIP_1) | instid1(VALU_DEP_3)
	v_fma_f16 v0, v173, v0, -v3
	v_sub_f16_e32 v3, v25, v27
	v_fmac_f16_e64 v14, v173, v77
	s_delay_alu instid0(VALU_DEP_3) | instskip(NEXT) | instid1(VALU_DEP_3)
	v_sub_f16_e32 v38, v0, v33
	v_add_f16_e32 v3, v3, v30
	v_sub_f16_e32 v30, v28, v29
	s_delay_alu instid0(VALU_DEP_4)
	v_sub_f16_e32 v34, v14, v37
	v_sub_f16_e32 v42, v26, v14
	v_sub_f16_e32 v45, v23, v0
	v_add_f16_e32 v89, v89, v14
	v_add_f16_e32 v30, v30, v31
	v_sub_f16_e32 v31, v26, v35
	v_fmamk_f16 v43, v42, 0x3b9c, v40
	v_add_f16_e32 v90, v90, v0
	v_fmac_f16_e32 v40, 0xbb9c, v42
	v_fmac_f16_e32 v97, 0x34f2, v30
	v_add_f16_e32 v31, v31, v34
	v_sub_f16_e32 v34, v23, v32
	v_fmac_f16_e32 v43, 0x38b4, v44
	v_add_f16_e32 v92, v80, v90
	v_fmac_f16_e32 v40, 0xb8b4, v44
	v_fmac_f16_e32 v99, 0x34f2, v30
	v_add_f16_e32 v34, v34, v38
	v_add_f16_e32 v38, v35, v37
	v_sub_f16_e32 v30, v8, v2
	s_delay_alu instid0(VALU_DEP_3) | instskip(NEXT) | instid1(VALU_DEP_3)
	v_fmac_f16_e32 v43, 0x34f2, v34
	v_fma_f16 v38, -0.5, v38, v21
	v_fmac_f16_e32 v40, 0x34f2, v34
	v_add_f16_e32 v34, v16, v17
	s_delay_alu instid0(VALU_DEP_4) | instskip(NEXT) | instid1(VALU_DEP_4)
	v_mul_f16_e32 v77, 0xb8b4, v43
	v_fmamk_f16 v46, v45, 0xbb9c, v38
	v_mul_f16_e32 v43, 0x3a79, v43
	v_fmac_f16_e32 v38, 0x3b9c, v45
	v_add_f16_e32 v34, v34, v7
	s_delay_alu instid0(VALU_DEP_4) | instskip(NEXT) | instid1(VALU_DEP_3)
	v_fmac_f16_e32 v46, 0xb8b4, v47
	v_fmac_f16_e32 v38, 0x38b4, v47
	s_delay_alu instid0(VALU_DEP_3) | instskip(NEXT) | instid1(VALU_DEP_3)
	v_add_f16_e32 v34, v34, v9
	v_fmac_f16_e32 v46, 0x34f2, v31
	s_delay_alu instid0(VALU_DEP_3) | instskip(NEXT) | instid1(VALU_DEP_2)
	v_fmac_f16_e32 v38, 0x34f2, v31
	v_fmac_f16_e32 v77, 0x3a79, v46
	;; [unrolled: 1-line block ×3, first 2 shown]
	v_add_f16_e32 v46, v1, v25
	s_delay_alu instid0(VALU_DEP_2) | instskip(NEXT) | instid1(VALU_DEP_2)
	v_add_f16_e32 v102, v99, v43
	v_add_f16_e32 v46, v46, v27
	s_delay_alu instid0(VALU_DEP_1) | instskip(NEXT) | instid1(VALU_DEP_1)
	v_add_f16_e32 v46, v46, v36
	v_add_f16_e32 v46, v46, v39
	s_delay_alu instid0(VALU_DEP_1) | instskip(NEXT) | instid1(VALU_DEP_1)
	v_add_f16_e32 v91, v46, v89
	v_pack_b32_f16 v91, v91, v92
	v_add_f16_e32 v92, v27, v36
	v_sub_f16_e32 v27, v27, v25
	v_add_f16_e32 v25, v25, v39
	v_sub_f16_e32 v36, v36, v39
	s_delay_alu instid0(VALU_DEP_4) | instskip(NEXT) | instid1(VALU_DEP_3)
	v_fma_f16 v92, -0.5, v92, v1
	v_fmac_f16_e32 v1, -0.5, v25
	s_delay_alu instid0(VALU_DEP_3)
	v_add_f16_e32 v25, v27, v36
	v_sub_f16_e32 v27, v29, v28
	v_add_f16_e32 v28, v28, v15
	v_sub_f16_e32 v15, v41, v15
	v_fmamk_f16 v29, v96, 0x3b9c, v1
	v_fmac_f16_e32 v1, 0xbb9c, v96
	v_fmamk_f16 v94, v93, 0xbb9c, v92
	v_fmac_f16_e32 v79, -0.5, v28
	v_add_f16_e32 v15, v27, v15
	v_fmac_f16_e32 v29, 0xb8b4, v93
	v_fmac_f16_e32 v1, 0x38b4, v93
	;; [unrolled: 1-line block ×3, first 2 shown]
	v_fmamk_f16 v27, v100, 0xbb9c, v79
	v_fmac_f16_e32 v79, 0x3b9c, v100
	v_fmac_f16_e32 v29, 0x34f2, v25
	;; [unrolled: 1-line block ×3, first 2 shown]
	v_sub_f16_e32 v25, v35, v26
	v_add_f16_e32 v26, v26, v14
	v_fmac_f16_e32 v27, 0x38b4, v98
	v_fmac_f16_e32 v79, 0xb8b4, v98
	v_sub_f16_e32 v14, v37, v14
	v_fmac_f16_e32 v94, 0xb8b4, v96
	v_fmac_f16_e32 v21, -0.5, v26
	v_fmac_f16_e32 v27, 0x34f2, v15
	v_fmac_f16_e32 v79, 0x34f2, v15
	v_add_f16_e32 v15, v23, v0
	v_add_f16_e32 v14, v25, v14
	v_sub_f16_e32 v0, v33, v0
	v_fmac_f16_e32 v92, 0x38b4, v96
	v_fmac_f16_e32 v94, 0x34f2, v3
	v_fmac_f16_e32 v22, -0.5, v15
	v_sub_f16_e32 v15, v32, v23
	v_fmamk_f16 v23, v47, 0x3b9c, v21
	v_fmac_f16_e32 v21, 0xbb9c, v47
	v_fmac_f16_e32 v92, 0x34f2, v3
	v_mul_f16_e32 v3, 0xb8b4, v40
	v_add_f16_e32 v0, v15, v0
	v_fmac_f16_e32 v23, 0xb8b4, v45
	v_fmac_f16_e32 v21, 0x38b4, v45
	v_lshrrev_b32_e32 v32, 16, v24
	v_fmac_f16_e32 v3, 0xba79, v38
	v_add_f16_e32 v35, v4, v5
	v_fmac_f16_e32 v23, 0x34f2, v14
	v_fmac_f16_e32 v21, 0x34f2, v14
	v_fmamk_f16 v14, v44, 0xbb9c, v22
	v_fmac_f16_e32 v22, 0x3b9c, v44
	v_add_f16_e32 v26, v92, v3
	v_add_f16_e32 v33, v32, v19
	;; [unrolled: 1-line block ×3, first 2 shown]
	v_fmac_f16_e32 v14, 0x38b4, v42
	v_fmac_f16_e32 v22, 0xb8b4, v42
	v_sub_f16_e32 v42, v18, v13
	v_add_f16_e32 v33, v33, v6
	v_add_f16_e32 v35, v35, v2
	v_fmac_f16_e32 v14, 0x34f2, v0
	v_fmac_f16_e32 v22, 0x34f2, v0
	v_sub_f16_e32 v44, v20, v10
	v_add_f16_e32 v33, v33, v11
	v_add_f16_e32 v41, v6, v11
	v_mul_f16_e32 v0, 0xbb9c, v14
	v_mul_f16_e32 v14, 0x34f2, v14
	;; [unrolled: 1-line block ×4, first 2 shown]
	v_add_f16_e32 v33, v33, v12
	v_fmac_f16_e32 v0, 0x34f2, v23
	v_fmac_f16_e32 v14, 0x3b9c, v23
	;; [unrolled: 1-line block ×4, first 2 shown]
	v_fma_f16 v41, -0.5, v41, v32
	v_add_f16_e32 v21, v29, v0
	v_add_f16_e32 v23, v27, v14
	v_sub_f16_e32 v0, v29, v0
	v_add_f16_e32 v25, v79, v22
	v_sub_f16_e32 v14, v27, v14
	v_sub_f16_e32 v27, v7, v9
	v_pack_b32_f16 v21, v21, v23
	v_add_f16_e32 v23, v1, v15
	v_add_f16_e32 v101, v94, v77
	v_pack_b32_f16 v0, v0, v14
	s_delay_alu instid0(VALU_DEP_3) | instskip(SKIP_1) | instid1(VALU_DEP_4)
	v_pack_b32_f16 v23, v23, v25
	v_sub_f16_e32 v25, v80, v90
	v_pack_b32_f16 v101, v101, v102
	ds_store_2addr_b32 v177, v21, v23 offset0:60 offset1:90
	v_mul_f16_e32 v21, 0xba79, v40
	v_sub_f16_e32 v23, v46, v89
	v_sub_f16_e32 v40, v6, v11
	ds_store_2addr_b32 v177, v91, v101 offset1:30
	v_fmac_f16_e32 v21, 0x38b4, v38
	v_pack_b32_f16 v23, v23, v25
	v_sub_f16_e32 v25, v99, v43
	v_sub_f16_e32 v38, v19, v12
	v_fmamk_f16 v43, v42, 0x3b9c, v41
	v_add_f16_e32 v28, v97, v21
	v_sub_f16_e32 v14, v97, v21
	v_fmac_f16_e32 v41, 0xbb9c, v42
	s_delay_alu instid0(VALU_DEP_4) | instskip(NEXT) | instid1(VALU_DEP_4)
	v_fmac_f16_e32 v43, 0x38b4, v44
	v_pack_b32_f16 v26, v26, v28
	s_delay_alu instid0(VALU_DEP_3) | instskip(SKIP_2) | instid1(VALU_DEP_1)
	v_fmac_f16_e32 v41, 0xb8b4, v44
	ds_store_2addr_b32 v177, v26, v23 offset0:120 offset1:150
	v_sub_f16_e32 v23, v94, v77
	v_pack_b32_f16 v23, v23, v25
	ds_store_2addr_b32 v177, v23, v0 offset0:180 offset1:210
	v_sub_f16_e32 v0, v1, v15
	v_sub_f16_e32 v1, v92, v3
	;; [unrolled: 1-line block ×4, first 2 shown]
	v_add_f16_e32 v23, v8, v2
	v_sub_f16_e32 v11, v11, v12
	v_pack_b32_f16 v1, v1, v14
	v_pack_b32_f16 v0, v0, v3
	scratch_load_b32 v3, off, off offset:264 th:TH_LOAD_LU ; 4-byte Folded Reload
	v_sub_f16_e32 v14, v13, v10
	v_fma_f16 v23, -0.5, v23, v4
	s_wait_loadcnt 0x0
	ds_store_2addr_b32 v3, v0, v1 offset0:112 offset1:142
	v_lshrrev_b32_e32 v0, 16, v78
	v_lshrrev_b32_e32 v3, 16, v171
	s_delay_alu instid0(VALU_DEP_1) | instskip(SKIP_1) | instid1(VALU_DEP_2)
	v_mul_f16_e32 v1, v3, v0
	v_mul_f16_e32 v3, v3, v78
	v_fmac_f16_e64 v1, v171, v78
	s_delay_alu instid0(VALU_DEP_2) | instskip(SKIP_1) | instid1(VALU_DEP_3)
	v_fma_f16 v0, v171, v0, -v3
	v_sub_f16_e32 v3, v18, v20
	v_sub_f16_e32 v21, v1, v9
	s_delay_alu instid0(VALU_DEP_3) | instskip(NEXT) | instid1(VALU_DEP_3)
	v_sub_f16_e32 v22, v0, v2
	v_add_f16_e32 v3, v3, v14
	v_sub_f16_e32 v14, v19, v6
	v_sub_f16_e32 v25, v17, v1
	;; [unrolled: 1-line block ×3, first 2 shown]
	v_add_f16_e32 v34, v34, v1
	v_add_f16_e32 v35, v35, v0
	;; [unrolled: 1-line block ×3, first 2 shown]
	v_sub_f16_e32 v15, v17, v7
	v_fmamk_f16 v26, v25, 0x3b9c, v23
	v_sub_f16_e32 v6, v6, v19
	v_add_f16_e32 v37, v33, v35
	v_fmac_f16_e32 v23, 0xbb9c, v25
	v_add_f16_e32 v15, v15, v21
	v_sub_f16_e32 v21, v5, v8
	v_fmac_f16_e32 v26, 0x38b4, v27
	v_add_f16_e32 v6, v6, v11
	v_fmac_f16_e32 v23, 0xb8b4, v27
	v_fmac_f16_e32 v41, 0x34f2, v14
	v_add_f16_e32 v21, v21, v22
	v_add_f16_e32 v22, v7, v9
	v_sub_f16_e32 v7, v7, v17
	v_fmac_f16_e32 v43, 0x34f2, v14
	s_delay_alu instid0(VALU_DEP_4) | instskip(NEXT) | instid1(VALU_DEP_4)
	v_fmac_f16_e32 v26, 0x34f2, v21
	v_fma_f16 v22, -0.5, v22, v16
	v_fmac_f16_e32 v23, 0x34f2, v21
	s_delay_alu instid0(VALU_DEP_3) | instskip(NEXT) | instid1(VALU_DEP_3)
	v_mul_f16_e32 v31, 0xb8b4, v26
	v_fmamk_f16 v29, v28, 0xbb9c, v22
	v_mul_f16_e32 v26, 0x3a79, v26
	v_fmac_f16_e32 v22, 0x3b9c, v28
	s_delay_alu instid0(VALU_DEP_3) | instskip(NEXT) | instid1(VALU_DEP_2)
	v_fmac_f16_e32 v29, 0xb8b4, v30
	v_fmac_f16_e32 v22, 0x38b4, v30
	s_delay_alu instid0(VALU_DEP_2) | instskip(NEXT) | instid1(VALU_DEP_2)
	v_fmac_f16_e32 v29, 0x34f2, v15
	v_fmac_f16_e32 v22, 0x34f2, v15
	s_delay_alu instid0(VALU_DEP_2) | instskip(SKIP_2) | instid1(VALU_DEP_2)
	v_fmac_f16_e32 v31, 0x3a79, v29
	v_fmac_f16_e32 v26, 0x38b4, v29
	v_add_f16_e32 v29, v24, v18
	v_add_f16_e32 v46, v43, v26
	s_delay_alu instid0(VALU_DEP_2) | instskip(NEXT) | instid1(VALU_DEP_1)
	v_add_f16_e32 v29, v29, v20
	v_add_f16_e32 v29, v29, v10
	s_delay_alu instid0(VALU_DEP_1) | instskip(NEXT) | instid1(VALU_DEP_1)
	v_add_f16_e32 v29, v29, v13
	v_add_f16_e32 v36, v29, v34
	s_delay_alu instid0(VALU_DEP_1)
	v_pack_b32_f16 v36, v36, v37
	v_add_f16_e32 v37, v20, v10
	v_sub_f16_e32 v20, v20, v18
	v_add_f16_e32 v18, v18, v13
	v_sub_f16_e32 v10, v10, v13
	v_add_f16_e32 v13, v19, v12
	v_fma_f16 v37, -0.5, v37, v24
	s_delay_alu instid0(VALU_DEP_4) | instskip(NEXT) | instid1(VALU_DEP_4)
	v_fmac_f16_e32 v24, -0.5, v18
	v_add_f16_e32 v10, v20, v10
	s_delay_alu instid0(VALU_DEP_4) | instskip(NEXT) | instid1(VALU_DEP_4)
	v_fmac_f16_e32 v32, -0.5, v13
	v_fmamk_f16 v39, v38, 0xbb9c, v37
	v_fmac_f16_e32 v37, 0x3b9c, v38
	v_fmamk_f16 v12, v40, 0x3b9c, v24
	v_fmac_f16_e32 v24, 0xbb9c, v40
	s_delay_alu instid0(VALU_DEP_4) | instskip(NEXT) | instid1(VALU_DEP_4)
	v_fmac_f16_e32 v39, 0xb8b4, v40
	v_fmac_f16_e32 v37, 0x38b4, v40
	s_delay_alu instid0(VALU_DEP_4) | instskip(NEXT) | instid1(VALU_DEP_4)
	v_fmac_f16_e32 v12, 0xb8b4, v38
	;; [unrolled: 3-line block ×4, first 2 shown]
	v_fmac_f16_e32 v24, 0x34f2, v10
	v_add_f16_e32 v10, v17, v1
	v_sub_f16_e32 v1, v9, v1
	v_fmamk_f16 v9, v44, 0xbb9c, v32
	v_fmac_f16_e32 v32, 0x3b9c, v44
	v_mul_f16_e32 v3, 0xb8b4, v23
	v_fmac_f16_e32 v16, -0.5, v10
	v_add_f16_e32 v1, v7, v1
	v_fmac_f16_e32 v9, 0x38b4, v42
	v_fmac_f16_e32 v32, 0xb8b4, v42
	;; [unrolled: 1-line block ×3, first 2 shown]
	v_add_f16_e32 v45, v39, v31
	s_delay_alu instid0(VALU_DEP_4) | instskip(NEXT) | instid1(VALU_DEP_4)
	v_fmac_f16_e32 v9, 0x34f2, v6
	v_fmac_f16_e32 v32, 0x34f2, v6
	v_add_f16_e32 v6, v5, v0
	v_sub_f16_e32 v0, v2, v0
	v_fmamk_f16 v2, v30, 0x3b9c, v16
	v_fmac_f16_e32 v16, 0xbb9c, v30
	v_sub_f16_e32 v5, v8, v5
	v_fmac_f16_e32 v4, -0.5, v6
	v_add_f16_e32 v8, v37, v3
	v_fmac_f16_e32 v2, 0xb8b4, v28
	v_fmac_f16_e32 v16, 0x38b4, v28
	v_add_f16_e32 v0, v5, v0
	v_pack_b32_f16 v45, v45, v46
	s_delay_alu instid0(VALU_DEP_4) | instskip(NEXT) | instid1(VALU_DEP_4)
	v_fmac_f16_e32 v2, 0x34f2, v1
	v_fmac_f16_e32 v16, 0x34f2, v1
	v_fmamk_f16 v1, v27, 0xbb9c, v4
	v_fmac_f16_e32 v4, 0x3b9c, v27
	ds_store_2addr_b32 v175, v36, v45 offset1:30
	v_fmac_f16_e32 v1, 0x38b4, v25
	v_fmac_f16_e32 v4, 0xb8b4, v25
	s_delay_alu instid0(VALU_DEP_2) | instskip(NEXT) | instid1(VALU_DEP_2)
	v_fmac_f16_e32 v1, 0x34f2, v0
	v_fmac_f16_e32 v4, 0x34f2, v0
	s_delay_alu instid0(VALU_DEP_2) | instskip(SKIP_1) | instid1(VALU_DEP_2)
	v_mul_f16_e32 v0, 0xbb9c, v1
	v_mul_f16_e32 v1, 0x34f2, v1
	v_fmac_f16_e32 v0, 0x34f2, v2
	s_delay_alu instid0(VALU_DEP_2) | instskip(SKIP_2) | instid1(VALU_DEP_4)
	v_fmac_f16_e32 v1, 0x3b9c, v2
	v_mul_f16_e32 v2, 0xbb9c, v4
	v_mul_f16_e32 v4, 0xb4f2, v4
	v_add_f16_e32 v5, v12, v0
	s_delay_alu instid0(VALU_DEP_4) | instskip(NEXT) | instid1(VALU_DEP_4)
	v_add_f16_e32 v6, v9, v1
	v_fmac_f16_e32 v2, 0xb4f2, v16
	s_delay_alu instid0(VALU_DEP_4)
	v_fmac_f16_e32 v4, 0x3b9c, v16
	v_sub_f16_e32 v0, v12, v0
	v_sub_f16_e32 v1, v9, v1
	v_pack_b32_f16 v5, v5, v6
	v_add_f16_e32 v6, v24, v2
	v_add_f16_e32 v7, v32, v4
	s_delay_alu instid0(VALU_DEP_4) | instskip(SKIP_1) | instid1(VALU_DEP_3)
	v_pack_b32_f16 v0, v0, v1
	v_sub_f16_e32 v1, v37, v3
	v_pack_b32_f16 v6, v6, v7
	v_sub_f16_e32 v7, v33, v35
	ds_store_2addr_b32 v175, v5, v6 offset0:60 offset1:90
	v_mul_f16_e32 v5, 0xba79, v23
	v_sub_f16_e32 v6, v29, v34
	s_delay_alu instid0(VALU_DEP_2) | instskip(NEXT) | instid1(VALU_DEP_2)
	v_fmac_f16_e32 v5, 0x38b4, v22
	v_pack_b32_f16 v6, v6, v7
	v_sub_f16_e32 v7, v43, v26
	s_delay_alu instid0(VALU_DEP_3) | instskip(SKIP_1) | instid1(VALU_DEP_2)
	v_add_f16_e32 v10, v41, v5
	v_sub_f16_e32 v3, v41, v5
	v_pack_b32_f16 v8, v8, v10
	s_delay_alu instid0(VALU_DEP_2) | instskip(SKIP_2) | instid1(VALU_DEP_1)
	v_pack_b32_f16 v1, v1, v3
	ds_store_2addr_b32 v175, v8, v6 offset0:120 offset1:150
	v_sub_f16_e32 v6, v39, v31
	v_pack_b32_f16 v6, v6, v7
	ds_store_2addr_b32 v175, v6, v0 offset0:180 offset1:210
	v_sub_f16_e32 v0, v24, v2
	v_sub_f16_e32 v2, v32, v4
	s_delay_alu instid0(VALU_DEP_1)
	v_pack_b32_f16 v0, v0, v2
	scratch_load_b32 v2, off, off offset:260 th:TH_LOAD_LU ; 4-byte Folded Reload
	s_wait_loadcnt 0x0
	ds_store_2addr_b32 v2, v0, v1 offset0:112 offset1:142
	global_wb scope:SCOPE_SE
	s_wait_dscnt 0x0
	s_barrier_signal -1
	s_barrier_wait -1
	global_inv scope:SCOPE_SE
	ds_load_2addr_b32 v[0:1], v250 offset0:132 offset1:222
	ds_load_2addr_b32 v[7:8], v170 offset0:88 offset1:178
	s_wait_dscnt 0x1
	v_lshrrev_b32_e32 v2, 16, v0
	v_mul_f16_e64 v3, v189, v0
	s_wait_dscnt 0x0
	v_mul_f16_e64 v13, v216, v8
	s_delay_alu instid0(VALU_DEP_3) | instskip(NEXT) | instid1(VALU_DEP_3)
	v_mul_f16_e64 v9, v189, v2
	v_fma_f16 v10, v49, v2, -v3
	ds_load_2addr_b32 v[2:3], v163 offset0:8 offset1:98
	v_fmac_f16_e32 v9, v49, v0
	v_lshrrev_b32_e32 v0, 16, v1
	s_delay_alu instid0(VALU_DEP_1) | instskip(NEXT) | instid1(VALU_DEP_1)
	v_mul_f16_e64 v16, v188, v0
	v_fmac_f16_e32 v16, v61, v1
	v_mul_f16_e64 v1, v188, v1
	s_wait_dscnt 0x0
	v_lshrrev_b32_e32 v4, 16, v2
	s_delay_alu instid0(VALU_DEP_2) | instskip(SKIP_3) | instid1(VALU_DEP_2)
	v_fma_f16 v18, v61, v0, -v1
	ds_load_2addr_b32 v[0:1], v241 offset0:56 offset1:146
	v_mul_f16_e64 v5, v191, v2
	v_mul_f16_e64 v11, v191, v4
	v_fma_f16 v12, v50, v4, -v5
	v_mul_f16_e64 v4, v190, v3
	s_delay_alu instid0(VALU_DEP_3) | instskip(SKIP_1) | instid1(VALU_DEP_2)
	v_fmac_f16_e32 v11, v50, v2
	v_lshrrev_b32_e32 v2, 16, v3
	v_add_f16_e32 v15, v9, v11
	s_delay_alu instid0(VALU_DEP_2) | instskip(SKIP_1) | instid1(VALU_DEP_2)
	v_mul_f16_e64 v17, v190, v2
	v_fma_f16 v19, v62, v2, -v4
	v_fmac_f16_e32 v17, v62, v3
	s_wait_dscnt 0x0
	v_lshrrev_b32_e32 v2, 16, v0
	v_mul_f16_e64 v3, v199, v0
	s_delay_alu instid0(VALU_DEP_2) | instskip(NEXT) | instid1(VALU_DEP_2)
	v_mul_f16_e64 v20, v199, v2
	v_fma_f16 v21, v67, v2, -v3
	ds_load_2addr_b32 v[2:3], v198 offset0:60 offset1:150
	v_fmac_f16_e32 v20, v67, v0
	v_lshrrev_b32_e32 v0, 16, v1
	s_delay_alu instid0(VALU_DEP_1) | instskip(NEXT) | instid1(VALU_DEP_1)
	v_mul_f16_e64 v24, v202, v0
	v_fmac_f16_e32 v24, v65, v1
	v_mul_f16_e64 v1, v202, v1
	s_wait_dscnt 0x0
	v_lshrrev_b32_e32 v4, 16, v2
	s_delay_alu instid0(VALU_DEP_2) | instskip(SKIP_3) | instid1(VALU_DEP_2)
	v_fma_f16 v26, v65, v0, -v1
	ds_load_2addr_b32 v[0:1], v181 offset0:108 offset1:198
	v_mul_f16_e64 v5, v196, v2
	v_mul_f16_e64 v22, v196, v4
	v_fma_f16 v23, v68, v4, -v5
	v_mul_f16_e64 v4, v201, v3
	s_delay_alu instid0(VALU_DEP_3) | instskip(SKIP_1) | instid1(VALU_DEP_1)
	v_fmac_f16_e32 v22, v68, v2
	v_lshrrev_b32_e32 v2, 16, v3
	v_mul_f16_e64 v25, v201, v2
	s_delay_alu instid0(VALU_DEP_4) | instskip(NEXT) | instid1(VALU_DEP_2)
	v_fma_f16 v27, v66, v2, -v4
	v_fmac_f16_e32 v25, v66, v3
	s_wait_dscnt 0x0
	v_lshrrev_b32_e32 v2, 16, v0
	v_mul_f16_e64 v3, v205, v0
	s_delay_alu instid0(VALU_DEP_2) | instskip(NEXT) | instid1(VALU_DEP_2)
	v_mul_f16_e64 v28, v205, v2
	v_fma_f16 v29, v53, v2, -v3
	ds_load_2addr_b32 v[2:3], v251 offset0:112 offset1:202
	v_fmac_f16_e32 v28, v53, v0
	v_lshrrev_b32_e32 v0, 16, v1
	s_delay_alu instid0(VALU_DEP_1) | instskip(NEXT) | instid1(VALU_DEP_1)
	v_mul_f16_e64 v32, v203, v0
	v_fmac_f16_e32 v32, v51, v1
	v_mul_f16_e64 v1, v203, v1
	s_wait_dscnt 0x0
	v_lshrrev_b32_e32 v4, 16, v2
	s_delay_alu instid0(VALU_DEP_2) | instskip(SKIP_3) | instid1(VALU_DEP_2)
	v_fma_f16 v34, v51, v0, -v1
	ds_load_2addr_b32 v[0:1], v143 offset0:160 offset1:250
	v_mul_f16_e64 v5, v206, v2
	v_mul_f16_e64 v30, v206, v4
	v_fma_f16 v31, v54, v4, -v5
	v_mul_f16_e64 v4, v204, v3
	s_delay_alu instid0(VALU_DEP_3) | instskip(SKIP_1) | instid1(VALU_DEP_1)
	v_fmac_f16_e32 v30, v54, v2
	v_lshrrev_b32_e32 v2, 16, v3
	v_mul_f16_e64 v33, v204, v2
	s_delay_alu instid0(VALU_DEP_4) | instskip(NEXT) | instid1(VALU_DEP_2)
	v_fma_f16 v35, v52, v2, -v4
	v_fmac_f16_e32 v33, v52, v3
	s_wait_dscnt 0x0
	v_lshrrev_b32_e32 v2, 16, v0
	v_mul_f16_e64 v3, v222, v0
	s_delay_alu instid0(VALU_DEP_2) | instskip(NEXT) | instid1(VALU_DEP_2)
	v_mul_f16_e64 v36, v222, v2
	v_fma_f16 v37, v63, v2, -v3
	ds_load_2addr_b32 v[2:3], v174 offset0:36 offset1:126
	v_fmac_f16_e32 v36, v63, v0
	v_lshrrev_b32_e32 v0, 16, v1
	s_delay_alu instid0(VALU_DEP_1) | instskip(NEXT) | instid1(VALU_DEP_1)
	v_mul_f16_e64 v40, v217, v0
	v_fmac_f16_e32 v40, v59, v1
	v_mul_f16_e64 v1, v217, v1
	s_wait_dscnt 0x0
	v_lshrrev_b32_e32 v4, 16, v2
	v_mul_f16_e64 v5, v223, v2
	s_delay_alu instid0(VALU_DEP_3) | instskip(NEXT) | instid1(VALU_DEP_3)
	v_fma_f16 v42, v59, v0, -v1
	v_mul_f16_e64 v38, v223, v4
	s_delay_alu instid0(VALU_DEP_3) | instskip(SKIP_4) | instid1(VALU_DEP_1)
	v_fma_f16 v39, v64, v4, -v5
	ds_load_2addr_b32 v[5:6], v172 offset0:84 offset1:174
	v_mul_f16_e64 v4, v221, v3
	v_fmac_f16_e32 v38, v64, v2
	v_lshrrev_b32_e32 v2, 16, v3
	v_mul_f16_e64 v41, v221, v2
	s_delay_alu instid0(VALU_DEP_4) | instskip(SKIP_1) | instid1(VALU_DEP_3)
	v_fma_f16 v43, v60, v2, -v4
	v_mul_f16_e64 v4, v220, v7
	v_fmac_f16_e32 v41, v60, v3
	v_lshrrev_b32_e32 v3, 16, v7
	s_wait_dscnt 0x0
	v_lshrrev_b32_e32 v1, 16, v5
	v_mul_f16_e64 v2, v218, v5
	s_delay_alu instid0(VALU_DEP_3) | instskip(NEXT) | instid1(VALU_DEP_3)
	v_fma_f16 v4, v58, v3, -v4
	v_mul_f16_e64 v0, v218, v1
	s_delay_alu instid0(VALU_DEP_3) | instskip(SKIP_1) | instid1(VALU_DEP_3)
	v_fma_f16 v1, v57, v1, -v2
	v_mul_f16_e64 v2, v220, v3
	v_fmac_f16_e32 v0, v57, v5
	v_lshrrev_b32_e32 v5, 16, v6
	s_delay_alu instid0(VALU_DEP_3) | instskip(SKIP_1) | instid1(VALU_DEP_3)
	v_fmac_f16_e32 v2, v58, v7
	v_lshrrev_b32_e32 v7, 16, v8
	v_mul_f16_e64 v44, v210, v5
	s_delay_alu instid0(VALU_DEP_2) | instskip(NEXT) | instid1(VALU_DEP_2)
	v_mul_f16_e64 v3, v216, v7
	v_fmac_f16_e32 v44, v55, v6
	v_mul_f16_e64 v6, v210, v6
	s_delay_alu instid0(VALU_DEP_3) | instskip(NEXT) | instid1(VALU_DEP_2)
	v_fmac_f16_e32 v3, v56, v8
	v_fma_f16 v45, v55, v5, -v6
	v_fma_f16 v5, v56, v7, -v13
	ds_load_2addr_b32 v[6:7], v158 offset1:90
	v_add_f16_e32 v13, v10, v12
	s_wait_dscnt 0x0
	v_lshrrev_b32_e32 v8, 16, v6
	v_lshrrev_b32_e32 v49, 16, v7
	s_delay_alu instid0(VALU_DEP_2)
	v_add_f16_e32 v14, v8, v10
	v_fmac_f16_e32 v8, -0.5, v13
	v_add_f16_e32 v13, v6, v9
	v_sub_f16_e32 v9, v9, v11
	v_fma_f16 v6, -0.5, v15, v6
	v_sub_f16_e32 v10, v10, v12
	s_delay_alu instid0(VALU_DEP_4) | instskip(NEXT) | instid1(VALU_DEP_2)
	v_add_f16_e32 v13, v13, v11
	v_fmamk_f16 v11, v10, 0xbaee, v6
	v_fmac_f16_e32 v6, 0x3aee, v10
	v_add_f16_e32 v10, v14, v12
	v_fmamk_f16 v12, v9, 0x3aee, v8
	v_fmac_f16_e32 v8, 0xbaee, v9
	v_add_f16_e32 v9, v49, v18
	s_delay_alu instid0(VALU_DEP_4) | instskip(NEXT) | instid1(VALU_DEP_4)
	v_pack_b32_f16 v46, v13, v10
	v_pack_b32_f16 v47, v11, v12
	s_delay_alu instid0(VALU_DEP_4) | instskip(SKIP_2) | instid1(VALU_DEP_2)
	v_pack_b32_f16 v6, v6, v8
	v_add_f16_e32 v8, v7, v16
	v_add_f16_e32 v9, v9, v19
	;; [unrolled: 1-line block ×3, first 2 shown]
	s_delay_alu instid0(VALU_DEP_1)
	v_pack_b32_f16 v50, v8, v9
	ds_load_2addr_b32 v[8:9], v238 offset0:52 offset1:142
	ds_load_2addr_b32 v[10:11], v237 offset0:104 offset1:194
	;; [unrolled: 1-line block ×4, first 2 shown]
	global_wb scope:SCOPE_SE
	s_wait_dscnt 0x0
	s_barrier_signal -1
	s_barrier_wait -1
	global_inv scope:SCOPE_SE
	ds_store_b32 v158, v47 offset:1200
	ds_store_b32 v158, v6 offset:2400
	ds_store_2addr_b32 v158, v46, v50 offset1:90
	v_add_f16_e32 v6, v16, v17
	s_delay_alu instid0(VALU_DEP_1) | instskip(SKIP_3) | instid1(VALU_DEP_3)
	v_fmac_f16_e32 v7, -0.5, v6
	v_add_f16_e32 v6, v18, v19
	v_sub_f16_e32 v18, v18, v19
	v_add_f16_e32 v19, v21, v23
	v_fmac_f16_e32 v49, -0.5, v6
	v_sub_f16_e32 v6, v16, v17
	s_delay_alu instid0(VALU_DEP_4) | instskip(SKIP_1) | instid1(VALU_DEP_3)
	v_fmamk_f16 v16, v18, 0xbaee, v7
	v_fmac_f16_e32 v7, 0x3aee, v18
	v_fmamk_f16 v17, v6, 0x3aee, v49
	v_fmac_f16_e32 v49, 0xbaee, v6
	s_delay_alu instid0(VALU_DEP_2) | instskip(NEXT) | instid1(VALU_DEP_2)
	v_pack_b32_f16 v16, v16, v17
	v_pack_b32_f16 v6, v7, v49
	v_lshrrev_b32_e32 v7, 16, v8
	s_delay_alu instid0(VALU_DEP_1) | instskip(SKIP_3) | instid1(VALU_DEP_4)
	v_add_f16_e32 v18, v7, v21
	v_sub_f16_e32 v21, v21, v23
	v_fmac_f16_e32 v7, -0.5, v19
	v_add_f16_e32 v19, v8, v20
	v_add_f16_e32 v18, v18, v23
	;; [unrolled: 1-line block ×3, first 2 shown]
	v_sub_f16_e32 v20, v20, v22
	s_delay_alu instid0(VALU_DEP_4) | instskip(NEXT) | instid1(VALU_DEP_3)
	v_add_f16_e32 v19, v19, v22
	v_fma_f16 v8, -0.5, v23, v8
	s_delay_alu instid0(VALU_DEP_2) | instskip(NEXT) | instid1(VALU_DEP_4)
	v_pack_b32_f16 v17, v19, v18
	v_fmamk_f16 v19, v20, 0x3aee, v7
	v_fmac_f16_e32 v7, 0xbaee, v20
	s_delay_alu instid0(VALU_DEP_4) | instskip(SKIP_1) | instid1(VALU_DEP_2)
	v_fmamk_f16 v18, v21, 0xbaee, v8
	v_fmac_f16_e32 v8, 0x3aee, v21
	v_pack_b32_f16 v18, v18, v19
	s_delay_alu instid0(VALU_DEP_2)
	v_pack_b32_f16 v7, v8, v7
	ds_store_b32 v158, v17 offset:720
	ds_store_2addr_b32 v237, v16, v18 offset0:134 offset1:224
	v_add_f16_e32 v8, v9, v24
	ds_store_2addr_b32 v165, v6, v7 offset0:50 offset1:140
	v_add_f16_e32 v6, v24, v25
	v_lshrrev_b32_e32 v7, 16, v9
	s_delay_alu instid0(VALU_DEP_2) | instskip(SKIP_1) | instid1(VALU_DEP_3)
	v_fmac_f16_e32 v9, -0.5, v6
	v_sub_f16_e32 v6, v26, v27
	v_add_f16_e32 v17, v7, v26
	s_delay_alu instid0(VALU_DEP_2) | instskip(SKIP_2) | instid1(VALU_DEP_1)
	v_fmamk_f16 v16, v6, 0xbaee, v9
	v_fmac_f16_e32 v9, 0x3aee, v6
	v_add_f16_e32 v6, v26, v27
	v_fmac_f16_e32 v7, -0.5, v6
	v_sub_f16_e32 v6, v24, v25
	s_delay_alu instid0(VALU_DEP_1) | instskip(SKIP_1) | instid1(VALU_DEP_1)
	v_fmamk_f16 v18, v6, 0x3aee, v7
	v_fmac_f16_e32 v7, 0xbaee, v6
	v_pack_b32_f16 v6, v9, v7
	v_add_f16_e32 v7, v8, v25
	v_add_f16_e32 v8, v17, v27
	v_lshrrev_b32_e32 v9, 16, v11
	s_delay_alu instid0(VALU_DEP_2)
	v_pack_b32_f16 v7, v7, v8
	v_pack_b32_f16 v8, v16, v18
	ds_store_b32 v179, v7
	ds_store_b32 v179, v8 offset:1200
	ds_store_b32 v179, v6 offset:2400
	v_lshrrev_b32_e32 v7, 16, v10
	v_add_f16_e32 v6, v10, v28
	v_add_f16_e32 v16, v9, v34
	s_delay_alu instid0(VALU_DEP_3) | instskip(NEXT) | instid1(VALU_DEP_3)
	v_add_f16_e32 v8, v7, v29
	v_add_f16_e32 v6, v6, v30
	s_delay_alu instid0(VALU_DEP_3) | instskip(NEXT) | instid1(VALU_DEP_3)
	v_add_f16_e32 v16, v16, v35
	v_add_f16_e32 v8, v8, v31
	s_delay_alu instid0(VALU_DEP_1) | instskip(SKIP_1) | instid1(VALU_DEP_1)
	v_pack_b32_f16 v6, v6, v8
	v_add_f16_e32 v8, v11, v32
	v_add_f16_e32 v8, v8, v33
	s_delay_alu instid0(VALU_DEP_1) | instskip(SKIP_3) | instid1(VALU_DEP_2)
	v_pack_b32_f16 v8, v8, v16
	ds_store_2addr_b32 v200, v6, v8 offset0:64 offset1:154
	v_add_f16_e32 v6, v32, v33
	v_sub_f16_e32 v8, v34, v35
	v_fmac_f16_e32 v11, -0.5, v6
	v_add_f16_e32 v6, v34, v35
	s_delay_alu instid0(VALU_DEP_2) | instskip(NEXT) | instid1(VALU_DEP_2)
	v_fmamk_f16 v16, v8, 0xbaee, v11
	v_fmac_f16_e32 v9, -0.5, v6
	v_sub_f16_e32 v6, v32, v33
	v_fmac_f16_e32 v11, 0x3aee, v8
	s_delay_alu instid0(VALU_DEP_2) | instskip(SKIP_2) | instid1(VALU_DEP_3)
	v_fmamk_f16 v8, v6, 0x3aee, v9
	v_fmac_f16_e32 v9, 0xbaee, v6
	v_add_f16_e32 v6, v28, v30
	v_pack_b32_f16 v8, v16, v8
	s_delay_alu instid0(VALU_DEP_3) | instskip(NEXT) | instid1(VALU_DEP_3)
	v_pack_b32_f16 v9, v11, v9
	v_fma_f16 v6, -0.5, v6, v10
	v_add_f16_e32 v10, v29, v31
	v_sub_f16_e32 v11, v28, v30
	s_delay_alu instid0(VALU_DEP_2) | instskip(SKIP_1) | instid1(VALU_DEP_2)
	v_fmac_f16_e32 v7, -0.5, v10
	v_sub_f16_e32 v10, v29, v31
	v_fmamk_f16 v18, v11, 0x3aee, v7
	s_delay_alu instid0(VALU_DEP_2)
	v_fmamk_f16 v17, v10, 0xbaee, v6
	v_fmac_f16_e32 v6, 0x3aee, v10
	v_fmac_f16_e32 v7, 0xbaee, v11
	v_sub_f16_e32 v10, v36, v38
	v_sub_f16_e32 v11, v37, v39
	v_pack_b32_f16 v17, v17, v18
	s_delay_alu instid0(VALU_DEP_4)
	v_pack_b32_f16 v6, v6, v7
	v_add_f16_e32 v7, v37, v39
	ds_store_2addr_b32 v181, v17, v8 offset0:108 offset1:198
	ds_store_2addr_b32 v172, v6, v9 offset0:24 offset1:114
	v_lshrrev_b32_e32 v6, 16, v12
	v_add_f16_e32 v9, v36, v38
	s_delay_alu instid0(VALU_DEP_2) | instskip(SKIP_2) | instid1(VALU_DEP_4)
	v_add_f16_e32 v8, v6, v37
	v_fmac_f16_e32 v6, -0.5, v7
	v_add_f16_e32 v7, v12, v36
	v_fma_f16 v9, -0.5, v9, v12
	s_delay_alu instid0(VALU_DEP_4) | instskip(NEXT) | instid1(VALU_DEP_3)
	v_add_f16_e32 v8, v8, v39
	v_add_f16_e32 v7, v7, v38
	s_delay_alu instid0(VALU_DEP_3) | instskip(SKIP_4) | instid1(VALU_DEP_3)
	v_fmamk_f16 v12, v11, 0xbaee, v9
	v_fmac_f16_e32 v9, 0x3aee, v11
	v_fmamk_f16 v11, v10, 0x3aee, v6
	v_fmac_f16_e32 v6, 0xbaee, v10
	v_pack_b32_f16 v7, v7, v8
	v_pack_b32_f16 v8, v12, v11
	s_delay_alu instid0(VALU_DEP_3)
	v_pack_b32_f16 v6, v9, v6
	ds_store_b32 v187, v7
	ds_store_b32 v187, v8 offset:1200
	ds_store_b32 v187, v6 offset:2400
	v_add_f16_e32 v6, v40, v41
	v_lshrrev_b32_e32 v7, 16, v13
	v_add_f16_e32 v8, v13, v40
	v_lshrrev_b32_e32 v12, 16, v15
	s_delay_alu instid0(VALU_DEP_4) | instskip(SKIP_2) | instid1(VALU_DEP_4)
	v_fmac_f16_e32 v13, -0.5, v6
	v_add_f16_e32 v6, v42, v43
	v_add_f16_e32 v9, v7, v42
	;; [unrolled: 1-line block ×3, first 2 shown]
	s_delay_alu instid0(VALU_DEP_3) | instskip(SKIP_1) | instid1(VALU_DEP_1)
	v_fmac_f16_e32 v7, -0.5, v6
	v_sub_f16_e32 v6, v42, v43
	v_fmamk_f16 v10, v6, 0xbaee, v13
	v_fmac_f16_e32 v13, 0x3aee, v6
	v_sub_f16_e32 v6, v40, v41
	s_delay_alu instid0(VALU_DEP_1) | instskip(SKIP_1) | instid1(VALU_DEP_1)
	v_fmamk_f16 v11, v6, 0x3aee, v7
	v_fmac_f16_e32 v7, 0xbaee, v6
	v_pack_b32_f16 v6, v13, v7
	v_add_f16_e32 v7, v8, v41
	v_add_f16_e32 v8, v9, v43
	;; [unrolled: 1-line block ×4, first 2 shown]
	s_delay_alu instid0(VALU_DEP_3) | instskip(NEXT) | instid1(VALU_DEP_3)
	v_pack_b32_f16 v7, v7, v8
	v_fmac_f16_e32 v15, -0.5, v9
	v_add_f16_e32 v9, v45, v5
	v_pack_b32_f16 v8, v10, v11
	ds_store_b32 v185, v7 offset:7200
	ds_store_b32 v185, v8 offset:8400
	;; [unrolled: 1-line block ×3, first 2 shown]
	v_fmac_f16_e32 v12, -0.5, v9
	v_sub_f16_e32 v9, v45, v5
	v_add_f16_e32 v6, v1, v4
	s_delay_alu instid0(VALU_DEP_2) | instskip(SKIP_2) | instid1(VALU_DEP_1)
	v_fmamk_f16 v17, v9, 0xbaee, v15
	v_fmac_f16_e32 v15, 0x3aee, v9
	v_sub_f16_e32 v9, v44, v3
	v_fmamk_f16 v18, v9, 0x3aee, v12
	v_fmac_f16_e32 v12, 0xbaee, v9
	v_add_f16_e32 v9, v0, v2
	s_delay_alu instid0(VALU_DEP_2) | instskip(NEXT) | instid1(VALU_DEP_2)
	v_pack_b32_f16 v12, v15, v12
	v_fma_f16 v9, -0.5, v9, v14
	v_add_f16_e32 v15, v14, v0
	v_lshrrev_b32_e32 v14, 16, v14
	v_sub_f16_e32 v0, v0, v2
	s_delay_alu instid0(VALU_DEP_3) | instskip(NEXT) | instid1(VALU_DEP_3)
	v_add_f16_e32 v10, v15, v2
	v_add_f16_e32 v11, v14, v1
	v_sub_f16_e32 v1, v1, v4
	v_fmac_f16_e32 v14, -0.5, v6
	s_delay_alu instid0(VALU_DEP_3) | instskip(NEXT) | instid1(VALU_DEP_3)
	v_add_f16_e32 v11, v11, v4
	v_fmamk_f16 v2, v1, 0xbaee, v9
	v_fmac_f16_e32 v9, 0x3aee, v1
	s_delay_alu instid0(VALU_DEP_4)
	v_fmamk_f16 v1, v0, 0x3aee, v14
	v_fmac_f16_e32 v14, 0xbaee, v0
	v_add_f16_e32 v0, v13, v3
	v_add_f16_e32 v3, v16, v5
	v_pack_b32_f16 v10, v10, v11
	v_pack_b32_f16 v1, v2, v1
	;; [unrolled: 1-line block ×3, first 2 shown]
	ds_store_b32 v183, v10 offset:7200
	ds_store_b32 v183, v1 offset:8400
	;; [unrolled: 1-line block ×3, first 2 shown]
	v_pack_b32_f16 v0, v0, v3
	v_pack_b32_f16 v1, v17, v18
	ds_store_b32 v184, v0 offset:7200
	ds_store_b32 v184, v1 offset:8400
	;; [unrolled: 1-line block ×3, first 2 shown]
	global_wb scope:SCOPE_SE
	s_wait_dscnt 0x0
	s_barrier_signal -1
	s_barrier_wait -1
	global_inv scope:SCOPE_SE
	ds_load_2addr_b32 v[0:1], v250 offset0:132 offset1:222
	s_wait_dscnt 0x0
	v_lshrrev_b32_e32 v2, 16, v0
	v_mul_f16_e64 v3, v214, v0
	s_delay_alu instid0(VALU_DEP_2) | instskip(NEXT) | instid1(VALU_DEP_2)
	v_mul_f16_e64 v4, v214, v2
	v_fma_f16 v5, v75, v2, -v3
	ds_load_2addr_b32 v[2:3], v163 offset0:8 offset1:98
	v_fmac_f16_e32 v4, v75, v0
	v_lshrrev_b32_e32 v0, 16, v1
	s_delay_alu instid0(VALU_DEP_1) | instskip(NEXT) | instid1(VALU_DEP_1)
	v_mul_f16_e64 v35, v207, v0
	v_fmac_f16_e32 v35, v73, v1
	v_mul_f16_e64 v1, v207, v1
	s_wait_dscnt 0x0
	v_lshrrev_b32_e32 v6, 16, v2
	s_delay_alu instid0(VALU_DEP_2) | instskip(SKIP_3) | instid1(VALU_DEP_2)
	v_fma_f16 v37, v73, v0, -v1
	ds_load_2addr_b32 v[0:1], v241 offset0:56 offset1:146
	v_mul_f16_e64 v7, v215, v2
	v_mul_f16_e64 v8, v215, v6
	v_fma_f16 v6, v76, v6, -v7
	v_mul_f16_e64 v7, v208, v3
	s_delay_alu instid0(VALU_DEP_3) | instskip(SKIP_1) | instid1(VALU_DEP_1)
	v_fmac_f16_e32 v8, v76, v2
	v_lshrrev_b32_e32 v2, 16, v3
	v_mul_f16_e64 v36, v208, v2
	s_delay_alu instid0(VALU_DEP_4) | instskip(NEXT) | instid1(VALU_DEP_2)
	v_fma_f16 v38, v74, v2, -v7
	v_fmac_f16_e32 v36, v74, v3
	s_wait_dscnt 0x0
	v_lshrrev_b32_e32 v2, 16, v0
	v_mul_f16_e64 v3, v225, v0
	s_delay_alu instid0(VALU_DEP_2) | instskip(NEXT) | instid1(VALU_DEP_2)
	v_mul_f16_e64 v11, v225, v2
	v_fma_f16 v39, v71, v2, -v3
	ds_load_2addr_b32 v[2:3], v198 offset0:60 offset1:150
	v_fmac_f16_e32 v11, v71, v0
	v_lshrrev_b32_e32 v0, 16, v1
	s_delay_alu instid0(VALU_DEP_1) | instskip(NEXT) | instid1(VALU_DEP_1)
	v_mul_f16_e64 v10, v227, v0
	v_fmac_f16_e32 v10, v69, v1
	v_mul_f16_e64 v1, v227, v1
	s_wait_dscnt 0x0
	v_lshrrev_b32_e32 v7, 16, v2
	s_delay_alu instid0(VALU_DEP_2) | instskip(SKIP_3) | instid1(VALU_DEP_2)
	v_fma_f16 v18, v69, v0, -v1
	ds_load_2addr_b32 v[0:1], v181 offset0:108 offset1:198
	v_mul_f16_e64 v9, v224, v2
	v_mul_f16_e64 v12, v224, v7
	v_fma_f16 v13, v72, v7, -v9
	v_mul_f16_e64 v7, v226, v3
	s_delay_alu instid0(VALU_DEP_3) | instskip(SKIP_1) | instid1(VALU_DEP_4)
	v_fmac_f16_e32 v12, v72, v2
	v_lshrrev_b32_e32 v2, 16, v3
	v_sub_f16_e32 v52, v39, v13
	s_delay_alu instid0(VALU_DEP_3) | instskip(NEXT) | instid1(VALU_DEP_3)
	v_sub_f16_e32 v53, v11, v12
	v_mul_f16_e64 v14, v226, v2
	v_fma_f16 v20, v70, v2, -v7
	s_delay_alu instid0(VALU_DEP_2) | instskip(SKIP_3) | instid1(VALU_DEP_2)
	v_fmac_f16_e32 v14, v70, v3
	s_wait_dscnt 0x0
	v_lshrrev_b32_e32 v2, 16, v0
	v_mul_f16_e64 v3, v240, v0
	v_mul_f16_e64 v17, v240, v2
	s_delay_alu instid0(VALU_DEP_2) | instskip(SKIP_3) | instid1(VALU_DEP_1)
	v_fma_f16 v19, v83, v2, -v3
	ds_load_2addr_b32 v[2:3], v251 offset0:112 offset1:202
	v_fmac_f16_e32 v17, v83, v0
	v_lshrrev_b32_e32 v0, 16, v1
	v_mul_f16_e64 v40, v243, v0
	s_delay_alu instid0(VALU_DEP_1) | instskip(SKIP_3) | instid1(VALU_DEP_2)
	v_fmac_f16_e32 v40, v81, v1
	s_wait_dscnt 0x0
	v_lshrrev_b32_e32 v7, 16, v2
	v_mul_f16_e64 v9, v239, v2
	v_mul_f16_e64 v15, v239, v7
	s_delay_alu instid0(VALU_DEP_2) | instskip(SKIP_1) | instid1(VALU_DEP_3)
	v_fma_f16 v16, v84, v7, -v9
	v_mul_f16_e64 v7, v242, v3
	v_fmac_f16_e32 v15, v84, v2
	v_mul_f16_e64 v2, v243, v1
	v_lshrrev_b32_e32 v1, 16, v3
	s_delay_alu instid0(VALU_DEP_2) | instskip(NEXT) | instid1(VALU_DEP_2)
	v_fma_f16 v41, v81, v0, -v2
	v_mul_f16_e64 v21, v242, v1
	v_fma_f16 v23, v82, v1, -v7
	ds_load_2addr_b32 v[0:1], v143 offset0:160 offset1:250
	v_fmac_f16_e32 v21, v82, v3
	s_wait_dscnt 0x0
	v_lshrrev_b32_e32 v2, 16, v0
	v_mul_f16_e64 v3, v246, v0
	s_delay_alu instid0(VALU_DEP_2) | instskip(NEXT) | instid1(VALU_DEP_2)
	v_mul_f16_e64 v22, v246, v2
	v_fma_f16 v42, v229, v2, -v3
	ds_load_2addr_b32 v[2:3], v174 offset0:36 offset1:126
	v_fmac_f16_e64 v22, v229, v0
	v_lshrrev_b32_e32 v0, 16, v1
	s_delay_alu instid0(VALU_DEP_1) | instskip(NEXT) | instid1(VALU_DEP_1)
	v_mul_f16_e64 v43, v249, v0
	v_fmac_f16_e64 v43, v212, v1
	s_wait_dscnt 0x0
	v_lshrrev_b32_e32 v7, 16, v2
	v_mul_f16_e64 v9, v245, v2
	s_delay_alu instid0(VALU_DEP_2) | instskip(NEXT) | instid1(VALU_DEP_2)
	v_mul_f16_e64 v24, v245, v7
	v_fma_f16 v25, v230, v7, -v9
	v_mul_f16_e64 v7, v247, v3
	s_delay_alu instid0(VALU_DEP_3) | instskip(SKIP_2) | instid1(VALU_DEP_2)
	v_fmac_f16_e64 v24, v230, v2
	v_mul_f16_e64 v2, v249, v1
	v_lshrrev_b32_e32 v1, 16, v3
	v_fma_f16 v44, v212, v0, -v2
	s_delay_alu instid0(VALU_DEP_2)
	v_mul_f16_e64 v27, v247, v1
	v_fma_f16 v30, v213, v1, -v7
	ds_load_2addr_b32 v[0:1], v172 offset0:84 offset1:174
	v_fmac_f16_e64 v27, v213, v3
	s_wait_dscnt 0x0
	v_lshrrev_b32_e32 v2, 16, v0
	v_mul_f16_e32 v3, v48, v0
	s_delay_alu instid0(VALU_DEP_2) | instskip(NEXT) | instid1(VALU_DEP_2)
	v_mul_f16_e32 v26, v48, v2
	v_fma_f16 v45, v87, v2, -v3
	ds_load_2addr_b32 v[2:3], v170 offset0:88 offset1:178
	v_fmac_f16_e32 v26, v87, v0
	v_lshrrev_b32_e32 v0, 16, v1
	s_delay_alu instid0(VALU_DEP_1) | instskip(NEXT) | instid1(VALU_DEP_1)
	v_mul_f16_e64 v32, v130, v0
	v_fmac_f16_e32 v32, v85, v1
	s_wait_dscnt 0x0
	v_lshrrev_b32_e32 v7, 16, v2
	v_mul_f16_e64 v9, v253, v2
	s_delay_alu instid0(VALU_DEP_2) | instskip(NEXT) | instid1(VALU_DEP_2)
	v_mul_f16_e64 v28, v253, v7
	v_fma_f16 v29, v88, v7, -v9
	v_mul_f16_e32 v7, v95, v3
	v_add_f16_e32 v9, v4, v8
	s_delay_alu instid0(VALU_DEP_4) | instskip(SKIP_2) | instid1(VALU_DEP_3)
	v_fmac_f16_e32 v28, v88, v2
	v_mul_f16_e64 v2, v130, v1
	v_lshrrev_b32_e32 v1, 16, v3
	v_sub_f16_e32 v63, v26, v28
	s_delay_alu instid0(VALU_DEP_3) | instskip(NEXT) | instid1(VALU_DEP_3)
	v_fma_f16 v34, v85, v0, -v2
	v_mul_f16_e32 v31, v95, v1
	v_fma_f16 v33, v86, v1, -v7
	ds_load_2addr_b32 v[0:1], v158 offset1:90
	v_fmac_f16_e32 v31, v86, v3
	v_add_f16_e32 v3, v5, v6
	s_wait_dscnt 0x0
	v_lshrrev_b32_e32 v2, 16, v0
	v_lshrrev_b32_e32 v47, 16, v1
	s_delay_alu instid0(VALU_DEP_2)
	v_add_f16_e32 v7, v2, v5
	v_fmac_f16_e32 v2, -0.5, v3
	v_add_f16_e32 v3, v0, v4
	v_sub_f16_e32 v4, v4, v8
	v_fma_f16 v0, -0.5, v9, v0
	v_sub_f16_e32 v5, v5, v6
	s_delay_alu instid0(VALU_DEP_4) | instskip(NEXT) | instid1(VALU_DEP_2)
	v_add_f16_e32 v3, v3, v8
	v_fmamk_f16 v8, v5, 0xbaee, v0
	v_fmac_f16_e32 v0, 0x3aee, v5
	v_add_f16_e32 v5, v7, v6
	v_fmamk_f16 v6, v4, 0x3aee, v2
	v_fmac_f16_e32 v2, 0xbaee, v4
	v_add_f16_e32 v4, v47, v37
	s_delay_alu instid0(VALU_DEP_4) | instskip(NEXT) | instid1(VALU_DEP_4)
	v_pack_b32_f16 v46, v3, v5
	v_pack_b32_f16 v3, v8, v6
	s_delay_alu instid0(VALU_DEP_4)
	v_pack_b32_f16 v0, v0, v2
	v_add_f16_e32 v2, v1, v35
	v_add_f16_e32 v4, v4, v38
	ds_store_b32 v158, v3 offset:3600
	ds_store_b32 v158, v0 offset:7200
	v_add_f16_e32 v0, v35, v36
	v_add_f16_e32 v2, v2, v36
	s_delay_alu instid0(VALU_DEP_2) | instskip(NEXT) | instid1(VALU_DEP_2)
	v_fmac_f16_e32 v1, -0.5, v0
	v_pack_b32_f16 v48, v2, v4
	ds_load_2addr_b32 v[8:9], v238 offset0:52 offset1:142
	ds_load_2addr_b32 v[6:7], v237 offset0:104 offset1:194
	;; [unrolled: 1-line block ×4, first 2 shown]
	v_add_f16_e32 v0, v37, v38
	ds_store_2addr_b32 v158, v46, v48 offset1:90
	v_sub_f16_e32 v46, v37, v38
	v_fmac_f16_e32 v47, -0.5, v0
	v_sub_f16_e32 v48, v35, v36
	v_add_f16_e32 v0, v39, v13
	v_sub_f16_e32 v37, v42, v25
	s_delay_alu instid0(VALU_DEP_3)
	v_fmamk_f16 v35, v48, 0x3aee, v47
	v_fmac_f16_e32 v47, 0xbaee, v48
	s_wait_dscnt 0x4
	v_lshrrev_b32_e32 v49, 16, v8
	s_wait_dscnt 0x3
	v_add_f16_e32 v54, v7, v40
	s_wait_dscnt 0x2
	v_add_f16_e32 v58, v5, v43
	s_wait_dscnt 0x1
	v_lshrrev_b32_e32 v60, 16, v2
	v_add_f16_e32 v50, v49, v39
	v_fmac_f16_e32 v49, -0.5, v0
	v_fmamk_f16 v0, v46, 0xbaee, v1
	s_delay_alu instid0(VALU_DEP_4) | instskip(NEXT) | instid1(VALU_DEP_3)
	v_add_f16_e32 v61, v60, v45
	v_fmamk_f16 v36, v53, 0x3aee, v49
	s_delay_alu instid0(VALU_DEP_3) | instskip(SKIP_2) | instid1(VALU_DEP_2)
	v_pack_b32_f16 v0, v0, v35
	v_add_f16_e32 v35, v11, v12
	v_fmac_f16_e32 v49, 0xbaee, v53
	v_fma_f16 v51, -0.5, v35, v8
	s_delay_alu instid0(VALU_DEP_1) | instskip(SKIP_1) | instid1(VALU_DEP_2)
	v_fmamk_f16 v35, v52, 0xbaee, v51
	v_fmac_f16_e32 v51, 0x3aee, v52
	v_pack_b32_f16 v35, v35, v36
	v_add_f16_e32 v36, v42, v25
	ds_store_2addr_b32 v200, v0, v35 offset0:94 offset1:184
	v_add_f16_e32 v0, v40, v21
	v_lshrrev_b32_e32 v35, 16, v7
	s_delay_alu instid0(VALU_DEP_2) | instskip(SKIP_1) | instid1(VALU_DEP_3)
	v_fmac_f16_e32 v7, -0.5, v0
	v_add_f16_e32 v0, v41, v23
	v_add_f16_e32 v55, v35, v41
	s_delay_alu instid0(VALU_DEP_2) | instskip(SKIP_1) | instid1(VALU_DEP_1)
	v_fmac_f16_e32 v35, -0.5, v0
	v_sub_f16_e32 v0, v41, v23
	v_fmamk_f16 v41, v0, 0xbaee, v7
	v_fmac_f16_e32 v7, 0x3aee, v0
	v_lshrrev_b32_e32 v0, 16, v4
	s_delay_alu instid0(VALU_DEP_1) | instskip(SKIP_2) | instid1(VALU_DEP_1)
	v_add_f16_e32 v56, v0, v42
	v_fmac_f16_e32 v0, -0.5, v36
	v_add_f16_e32 v36, v22, v24
	v_fma_f16 v36, -0.5, v36, v4
	s_delay_alu instid0(VALU_DEP_1) | instskip(SKIP_2) | instid1(VALU_DEP_1)
	v_fmamk_f16 v42, v37, 0xbaee, v36
	v_fmac_f16_e32 v36, 0x3aee, v37
	v_sub_f16_e32 v37, v22, v24
	v_fmamk_f16 v57, v37, 0x3aee, v0
	v_fmac_f16_e32 v0, 0xbaee, v37
	v_sub_f16_e32 v37, v40, v21
	s_delay_alu instid0(VALU_DEP_2) | instskip(NEXT) | instid1(VALU_DEP_2)
	v_pack_b32_f16 v0, v36, v0
	v_fmamk_f16 v40, v37, 0x3aee, v35
	v_fmac_f16_e32 v35, 0xbaee, v37
	scratch_load_b64 v[37:38], off, off offset:196 th:TH_LOAD_LU ; 8-byte Folded Reload
	v_pack_b32_f16 v7, v7, v35
	v_add_nc_u32_e32 v35, 0x2200, v158
	ds_store_2addr_b32 v35, v7, v0 offset0:74 offset1:164
	v_add_f16_e32 v0, v43, v27
	v_lshrrev_b32_e32 v7, 16, v5
	v_sub_f16_e32 v43, v43, v27
	s_delay_alu instid0(VALU_DEP_3) | instskip(SKIP_1) | instid1(VALU_DEP_4)
	v_fmac_f16_e32 v5, -0.5, v0
	v_add_f16_e32 v0, v44, v30
	v_add_f16_e32 v59, v7, v44
	v_sub_f16_e32 v44, v44, v30
	s_delay_alu instid0(VALU_DEP_3) | instskip(SKIP_2) | instid1(VALU_DEP_3)
	v_fmac_f16_e32 v7, -0.5, v0
	v_add_f16_e32 v0, v45, v29
	v_sub_f16_e32 v45, v45, v29
	v_fmamk_f16 v35, v43, 0x3aee, v7
	s_delay_alu instid0(VALU_DEP_3) | instskip(SKIP_3) | instid1(VALU_DEP_4)
	v_fmac_f16_e32 v60, -0.5, v0
	v_fmamk_f16 v0, v44, 0xbaee, v5
	v_fmac_f16_e32 v5, 0x3aee, v44
	v_fmac_f16_e32 v7, 0xbaee, v43
	v_fmamk_f16 v36, v63, 0x3aee, v60
	s_delay_alu instid0(VALU_DEP_4) | instskip(SKIP_2) | instid1(VALU_DEP_2)
	v_pack_b32_f16 v0, v0, v35
	v_add_f16_e32 v35, v26, v28
	v_fmac_f16_e32 v60, 0xbaee, v63
	v_fma_f16 v62, -0.5, v35, v2
	s_delay_alu instid0(VALU_DEP_1) | instskip(SKIP_1) | instid1(VALU_DEP_2)
	v_fmamk_f16 v35, v45, 0xbaee, v62
	v_fmac_f16_e32 v62, 0x3aee, v45
	v_pack_b32_f16 v35, v35, v36
	v_add_nc_u32_e32 v36, 0x1600, v158
	ds_store_2addr_b32 v36, v0, v35 offset0:122 offset1:212
	s_wait_loadcnt 0x0
	v_mad_co_u64_u32 v[35:36], null, s10, v37, 0
	s_delay_alu instid0(VALU_DEP_1) | instskip(NEXT) | instid1(VALU_DEP_1)
	v_mov_b32_e32 v0, v36
	v_mad_co_u64_u32 v[36:37], null, s11, v37, v[0:1]
	v_mad_co_u64_u32 v[37:38], null, s8, v120, 0
	s_mov_b32 s10, 0xa0ce5129
	s_mov_b32 s11, 0x3f3845c8
	s_delay_alu instid0(VALU_DEP_2) | instskip(NEXT) | instid1(VALU_DEP_2)
	v_lshlrev_b64_e32 v[35:36], 2, v[35:36]
	v_mov_b32_e32 v0, v38
	s_delay_alu instid0(VALU_DEP_1) | instskip(NEXT) | instid1(VALU_DEP_3)
	v_mad_co_u64_u32 v[38:39], null, s9, v120, v[0:1]
	v_add_co_u32 v0, vcc_lo, s0, v35
	s_wait_alu 0xfffd
	s_delay_alu instid0(VALU_DEP_4) | instskip(SKIP_2) | instid1(VALU_DEP_4)
	v_add_co_ci_u32_e32 v39, vcc_lo, s1, v36, vcc_lo
	v_fmac_f16_e32 v1, 0x3aee, v46
	s_mul_u64 s[8:9], s[8:9], s[12:13]
	v_lshlrev_b64_e32 v[35:36], 2, v[37:38]
	s_delay_alu instid0(VALU_DEP_1) | instskip(NEXT) | instid1(VALU_DEP_3)
	v_add_co_u32 v35, vcc_lo, v0, v35
	v_pack_b32_f16 v0, v1, v47
	v_pack_b32_f16 v1, v51, v49
	s_wait_alu 0xfffd
	s_delay_alu instid0(VALU_DEP_4) | instskip(SKIP_4) | instid1(VALU_DEP_3)
	v_add_co_ci_u32_e32 v36, vcc_lo, v39, v36, vcc_lo
	ds_store_2addr_b32 v163, v0, v1 offset0:98 offset1:188
	v_add_f16_e32 v0, v8, v11
	v_add_f16_e32 v1, v50, v13
	v_lshrrev_b32_e32 v8, 16, v9
	v_add_f16_e32 v0, v0, v12
	s_delay_alu instid0(VALU_DEP_2) | instskip(NEXT) | instid1(VALU_DEP_2)
	v_add_f16_e32 v11, v8, v18
	v_pack_b32_f16 v0, v0, v1
	v_add_f16_e32 v1, v9, v10
	s_delay_alu instid0(VALU_DEP_3) | instskip(NEXT) | instid1(VALU_DEP_2)
	v_add_f16_e32 v11, v11, v20
	v_add_f16_e32 v1, v1, v14
	s_delay_alu instid0(VALU_DEP_1) | instskip(SKIP_4) | instid1(VALU_DEP_2)
	v_pack_b32_f16 v1, v1, v11
	v_add_f16_e32 v11, v19, v16
	ds_store_2addr_b32 v238, v0, v1 offset0:52 offset1:142
	v_add_f16_e32 v0, v10, v14
	v_sub_f16_e32 v1, v18, v20
	v_fmac_f16_e32 v9, -0.5, v0
	v_add_f16_e32 v0, v18, v20
	s_delay_alu instid0(VALU_DEP_1) | instskip(SKIP_1) | instid1(VALU_DEP_4)
	v_fmac_f16_e32 v8, -0.5, v0
	v_sub_f16_e32 v0, v10, v14
	v_fmamk_f16 v10, v1, 0xbaee, v9
	v_fmac_f16_e32 v9, 0x3aee, v1
	s_delay_alu instid0(VALU_DEP_3) | instskip(SKIP_1) | instid1(VALU_DEP_2)
	v_fmamk_f16 v1, v0, 0x3aee, v8
	v_fmac_f16_e32 v8, 0xbaee, v0
	v_pack_b32_f16 v1, v10, v1
	s_delay_alu instid0(VALU_DEP_2) | instskip(SKIP_3) | instid1(VALU_DEP_3)
	v_pack_b32_f16 v0, v9, v8
	v_add_f16_e32 v8, v17, v15
	v_lshrrev_b32_e32 v9, 16, v6
	v_sub_f16_e32 v10, v19, v16
	v_fma_f16 v8, -0.5, v8, v6
	s_delay_alu instid0(VALU_DEP_3)
	v_add_f16_e32 v12, v9, v19
	v_fmac_f16_e32 v9, -0.5, v11
	v_sub_f16_e32 v11, v17, v15
	v_add_f16_e32 v6, v6, v17
	v_fmamk_f16 v13, v10, 0xbaee, v8
	v_fmac_f16_e32 v8, 0x3aee, v10
	s_delay_alu instid0(VALU_DEP_4) | instskip(SKIP_1) | instid1(VALU_DEP_2)
	v_fmamk_f16 v14, v11, 0x3aee, v9
	v_fmac_f16_e32 v9, 0xbaee, v11
	v_pack_b32_f16 v13, v13, v14
	ds_store_2addr_b32 v241, v1, v13 offset0:146 offset1:236
	v_pack_b32_f16 v1, v8, v9
	v_add_f16_e32 v8, v55, v23
	ds_store_2addr_b32 v251, v0, v1 offset0:22 offset1:112
	v_add_f16_e32 v0, v6, v15
	v_add_f16_e32 v1, v12, v16
	;; [unrolled: 1-line block ×3, first 2 shown]
	s_delay_alu instid0(VALU_DEP_2) | instskip(NEXT) | instid1(VALU_DEP_2)
	v_pack_b32_f16 v0, v0, v1
	v_pack_b32_f16 v1, v6, v8
	v_add_f16_e32 v6, v59, v30
	ds_store_2addr_b32 v237, v0, v1 offset0:104 offset1:194
	v_pack_b32_f16 v0, v41, v40
	v_pack_b32_f16 v1, v42, v57
	ds_store_2addr_b32 v143, v0, v1 offset0:70 offset1:160
	v_add_f16_e32 v0, v4, v22
	v_add_f16_e32 v1, v56, v25
	;; [unrolled: 1-line block ×3, first 2 shown]
	s_delay_alu instid0(VALU_DEP_3) | instskip(NEXT) | instid1(VALU_DEP_1)
	v_add_f16_e32 v0, v0, v24
	v_pack_b32_f16 v0, v0, v1
	s_delay_alu instid0(VALU_DEP_3)
	v_pack_b32_f16 v1, v4, v6
	v_lshrrev_b32_e32 v4, 16, v3
	ds_store_2addr_b32 v157, v0, v1 offset0:28 offset1:118
	v_add_f16_e32 v1, v32, v31
	v_pack_b32_f16 v0, v5, v7
	v_add_f16_e32 v5, v3, v32
	v_add_f16_e32 v7, v4, v34
	s_delay_alu instid0(VALU_DEP_4) | instskip(SKIP_1) | instid1(VALU_DEP_1)
	v_fmac_f16_e32 v3, -0.5, v1
	v_sub_f16_e32 v1, v34, v33
	v_fmamk_f16 v6, v1, 0xbaee, v3
	v_fmac_f16_e32 v3, 0x3aee, v1
	v_add_f16_e32 v1, v34, v33
	s_delay_alu instid0(VALU_DEP_1) | instskip(SKIP_1) | instid1(VALU_DEP_1)
	v_fmac_f16_e32 v4, -0.5, v1
	v_sub_f16_e32 v1, v32, v31
	v_fmamk_f16 v8, v1, 0x3aee, v4
	v_fmac_f16_e32 v4, 0xbaee, v1
	v_add_f16_e32 v1, v2, v26
	s_delay_alu instid0(VALU_DEP_2)
	v_pack_b32_f16 v2, v3, v4
	v_pack_b32_f16 v3, v62, v60
	v_add_f16_e32 v4, v7, v33
	ds_store_2addr_b32 v174, v0, v3 offset0:126 offset1:216
	v_add_f16_e32 v0, v1, v28
	v_add_f16_e32 v1, v61, v29
	;; [unrolled: 1-line block ×3, first 2 shown]
	s_delay_alu instid0(VALU_DEP_2) | instskip(NEXT) | instid1(VALU_DEP_2)
	v_pack_b32_f16 v0, v0, v1
	v_pack_b32_f16 v1, v3, v4
	ds_store_2addr_b32 v165, v0, v1 offset0:80 offset1:170
	v_pack_b32_f16 v0, v6, v8
	ds_store_b32 v158, v0 offset:6840
	ds_store_b32 v158, v2 offset:10440
	global_wb scope:SCOPE_SE
	s_wait_dscnt 0x0
	s_barrier_signal -1
	s_barrier_wait -1
	global_inv scope:SCOPE_SE
	s_clause 0x3
	scratch_load_b32 v15, off, off offset:240 th:TH_LOAD_LU
	scratch_load_b32 v16, off, off offset:244 th:TH_LOAD_LU
	;; [unrolled: 1-line block ×4, first 2 shown]
	ds_load_2addr_b32 v[4:5], v158 offset1:90
	ds_load_2addr_b32 v[11:12], v250 offset0:132 offset1:222
	s_clause 0x7
	scratch_load_b32 v23, off, off offset:216 th:TH_LOAD_LU
	scratch_load_b32 v24, off, off offset:220 th:TH_LOAD_LU
	;; [unrolled: 1-line block ×8, first 2 shown]
	s_wait_dscnt 0x1
	v_lshrrev_b32_e32 v8, 16, v4
	s_wait_dscnt 0x0
	v_lshrrev_b32_e32 v19, 16, v11
	s_wait_loadcnt 0xb
	v_mul_f16_e32 v0, v15, v4
	s_wait_loadcnt 0xa
	s_delay_alu instid0(VALU_DEP_1) | instskip(NEXT) | instid1(VALU_DEP_1)
	v_fma_f16 v0, v16, v8, -v0
	v_cvt_f32_f16_e32 v0, v0
	s_delay_alu instid0(VALU_DEP_1) | instskip(SKIP_1) | instid1(VALU_DEP_1)
	v_cvt_f64_f32_e32 v[0:1], v0
	s_wait_alu 0xfffe
	v_mul_f64_e32 v[6:7], s[10:11], v[0:1]
	s_delay_alu instid0(VALU_DEP_1) | instskip(SKIP_2) | instid1(VALU_DEP_3)
	v_and_or_b32 v0, 0x1ff, v7, v6
	v_lshrrev_b32_e32 v1, 8, v7
	v_bfe_u32 v13, v7, 20, 11
	v_cmp_ne_u32_e32 vcc_lo, 0, v0
	s_wait_alu 0xfffd
	v_cndmask_b32_e64 v0, 0, 1, vcc_lo
	s_delay_alu instid0(VALU_DEP_1) | instskip(SKIP_2) | instid1(VALU_DEP_3)
	v_and_or_b32 v6, 0xffe, v1, v0
	v_sub_nc_u32_e32 v0, 0x3f1, v13
	v_add_nc_u32_e32 v13, 0xfffffc10, v13
	v_or_b32_e32 v1, 0x1000, v6
	s_delay_alu instid0(VALU_DEP_3) | instskip(NEXT) | instid1(VALU_DEP_1)
	v_med3_i32 v0, v0, 0, 13
	v_lshrrev_b32_e32 v14, v0, v1
	s_delay_alu instid0(VALU_DEP_1) | instskip(NEXT) | instid1(VALU_DEP_1)
	v_lshlrev_b32_e32 v0, v0, v14
	v_cmp_ne_u32_e32 vcc_lo, v0, v1
	s_wait_loadcnt 0x9
	v_mul_f16_e32 v0, v22, v11
	s_wait_loadcnt 0x8
	s_delay_alu instid0(VALU_DEP_1) | instskip(SKIP_1) | instid1(VALU_DEP_2)
	v_fma_f16 v0, v25, v19, -v0
	v_mul_f16_e32 v19, v22, v19
	v_cvt_f32_f16_e32 v0, v0
	s_delay_alu instid0(VALU_DEP_2) | instskip(NEXT) | instid1(VALU_DEP_2)
	v_fmac_f16_e32 v19, v25, v11
	v_cvt_f64_f32_e32 v[0:1], v0
	s_delay_alu instid0(VALU_DEP_1) | instskip(NEXT) | instid1(VALU_DEP_1)
	v_mul_f64_e32 v[1:2], s[10:11], v[0:1]
	v_and_or_b32 v0, 0x1ff, v2, v1
	v_lshrrev_b32_e32 v1, 8, v2
	v_bfe_u32 v9, v2, 20, 11
	v_lshrrev_b32_e32 v2, 16, v2
	s_delay_alu instid0(VALU_DEP_4) | instskip(SKIP_1) | instid1(VALU_DEP_1)
	v_cmp_ne_u32_e64 s0, 0, v0
	s_wait_alu 0xf1ff
	v_cndmask_b32_e64 v0, 0, 1, s0
	s_delay_alu instid0(VALU_DEP_1) | instskip(SKIP_2) | instid1(VALU_DEP_3)
	v_and_or_b32 v3, 0xffe, v1, v0
	v_sub_nc_u32_e32 v0, 0x3f1, v9
	v_add_nc_u32_e32 v9, 0xfffffc10, v9
	v_or_b32_e32 v1, 0x1000, v3
	s_delay_alu instid0(VALU_DEP_3) | instskip(NEXT) | instid1(VALU_DEP_1)
	v_med3_i32 v0, v0, 0, 13
	v_lshrrev_b32_e32 v10, v0, v1
	s_delay_alu instid0(VALU_DEP_1) | instskip(NEXT) | instid1(VALU_DEP_1)
	v_lshlrev_b32_e32 v0, v0, v10
	v_cmp_ne_u32_e64 s0, v0, v1
	v_mul_f16_e32 v0, v15, v8
	s_clause 0x1
	scratch_load_b32 v8, off, off offset:228 th:TH_LOAD_LU
	scratch_load_b32 v15, off, off offset:224 th:TH_LOAD_LU
	v_lshrrev_b32_e32 v1, 16, v5
	v_fmac_f16_e32 v0, v16, v4
	s_delay_alu instid0(VALU_DEP_1) | instskip(SKIP_1) | instid1(VALU_DEP_3)
	v_cvt_f32_f16_e32 v0, v0
	s_wait_loadcnt 0x1
	v_mul_f16_e32 v4, v8, v1
	v_mul_f16_e32 v8, v8, v5
	s_wait_loadcnt 0x0
	s_delay_alu instid0(VALU_DEP_2) | instskip(NEXT) | instid1(VALU_DEP_2)
	v_fmac_f16_e32 v4, v15, v5
	v_fma_f16 v8, v15, v1, -v8
	v_cvt_f64_f32_e32 v[0:1], v0
	s_delay_alu instid0(VALU_DEP_3) | instskip(NEXT) | instid1(VALU_DEP_2)
	v_cvt_f32_f16_e32 v4, v4
	v_mul_f64_e32 v[0:1], s[10:11], v[0:1]
	s_delay_alu instid0(VALU_DEP_1) | instskip(SKIP_1) | instid1(VALU_DEP_2)
	v_and_or_b32 v0, 0x1ff, v1, v0
	v_lshrrev_b32_e32 v5, 8, v1
	v_cmp_ne_u32_e64 s1, 0, v0
	s_wait_alu 0xf1ff
	s_delay_alu instid0(VALU_DEP_1) | instskip(NEXT) | instid1(VALU_DEP_1)
	v_cndmask_b32_e64 v0, 0, 1, s1
	v_and_or_b32 v0, 0xffe, v5, v0
	v_bfe_u32 v5, v1, 20, 11
	v_lshrrev_b32_e32 v1, 16, v1
	s_delay_alu instid0(VALU_DEP_3) | instskip(NEXT) | instid1(VALU_DEP_3)
	v_or_b32_e32 v16, 0x1000, v0
	v_sub_nc_u32_e32 v15, 0x3f1, v5
	v_add_nc_u32_e32 v5, 0xfffffc10, v5
	v_cmp_ne_u32_e64 s2, 0, v0
	s_delay_alu instid0(VALU_DEP_3) | instskip(NEXT) | instid1(VALU_DEP_1)
	v_med3_i32 v15, v15, 0, 13
	v_lshrrev_b32_e32 v17, v15, v16
	s_delay_alu instid0(VALU_DEP_1) | instskip(NEXT) | instid1(VALU_DEP_1)
	v_lshlrev_b32_e32 v15, v15, v17
	v_cmp_ne_u32_e64 s1, v15, v16
	v_lshl_or_b32 v16, v5, 12, v0
	s_wait_alu 0xf1ff
	s_delay_alu instid0(VALU_DEP_2) | instskip(SKIP_1) | instid1(VALU_DEP_2)
	v_cndmask_b32_e64 v15, 0, 1, s1
	v_cmp_gt_i32_e64 s1, 1, v5
	v_or_b32_e32 v15, v17, v15
	s_wait_alu 0xf1ff
	s_delay_alu instid0(VALU_DEP_1) | instskip(SKIP_3) | instid1(VALU_DEP_2)
	v_cndmask_b32_e64 v15, v16, v15, s1
	s_wait_alu 0xfffd
	v_cndmask_b32_e64 v16, 0, 1, vcc_lo
	v_cmp_gt_i32_e32 vcc_lo, 1, v13
	v_or_b32_e32 v14, v14, v16
	v_lshl_or_b32 v16, v13, 12, v6
	s_wait_alu 0xfffd
	s_delay_alu instid0(VALU_DEP_1) | instskip(SKIP_1) | instid1(VALU_DEP_2)
	v_cndmask_b32_e32 v14, v16, v14, vcc_lo
	v_and_b32_e32 v16, 7, v15
	v_and_b32_e32 v0, 7, v14
	s_delay_alu instid0(VALU_DEP_2) | instskip(SKIP_1) | instid1(VALU_DEP_3)
	v_cmp_lt_i32_e32 vcc_lo, 5, v16
	v_cmp_eq_u32_e64 s1, 3, v16
	v_cmp_lt_i32_e64 s3, 5, v0
	v_cmp_eq_u32_e64 s4, 3, v0
	v_lshrrev_b32_e32 v0, 2, v15
	s_delay_alu instid0(VALU_DEP_4) | instskip(SKIP_1) | instid1(VALU_DEP_3)
	s_or_b32 vcc_lo, s1, vcc_lo
	v_cndmask_b32_e64 v15, 0, 1, s2
	s_or_b32 s1, s4, s3
	s_wait_alu 0xfffe
	v_add_co_ci_u32_e32 v0, vcc_lo, 0, v0, vcc_lo
	v_cmp_gt_i32_e32 vcc_lo, 31, v5
	v_lshl_or_b32 v15, v15, 9, 0x7c00
	s_wait_alu 0xfffd
	s_delay_alu instid0(VALU_DEP_3) | instskip(SKIP_3) | instid1(VALU_DEP_3)
	v_cndmask_b32_e32 v0, 0x7c00, v0, vcc_lo
	v_cmp_eq_u32_e32 vcc_lo, 0x40f, v5
	v_lshrrev_b32_e32 v5, 2, v14
	s_wait_alu 0xfffd
	v_cndmask_b32_e32 v0, v0, v15, vcc_lo
	v_cmp_ne_u32_e32 vcc_lo, 0, v6
	s_delay_alu instid0(VALU_DEP_3)
	v_add_co_ci_u32_e64 v5, s1, 0, v5, s1
	v_cmp_gt_i32_e64 s1, 31, v13
	ds_load_2addr_b32 v[15:16], v163 offset0:8 offset1:98
	s_wait_alu 0xfffd
	v_cndmask_b32_e64 v6, 0, 1, vcc_lo
	v_cmp_eq_u32_e32 vcc_lo, 0x40f, v13
	v_and_or_b32 v0, 0x8000, v1, v0
	s_wait_alu 0xf1ff
	v_cndmask_b32_e64 v5, 0x7c00, v5, s1
	v_lshl_or_b32 v6, v6, 9, 0x7c00
	s_wait_alu 0xfffd
	s_delay_alu instid0(VALU_DEP_1) | instskip(SKIP_4) | instid1(VALU_DEP_3)
	v_dual_cndmask_b32 v5, v5, v6 :: v_dual_and_b32 v0, 0xffff, v0
	v_lshrrev_b32_e32 v6, 16, v7
	v_add_co_u32 v13, vcc_lo, v35, s14
	s_wait_alu 0xfffd
	v_add_co_ci_u32_e32 v14, vcc_lo, s15, v36, vcc_lo
	v_and_or_b32 v1, 0x8000, v6, v5
	scratch_load_b32 v7, off, off offset:208 th:TH_LOAD_LU ; 4-byte Folded Reload
	s_wait_dscnt 0x0
	v_lshrrev_b32_e32 v6, 16, v15
	v_lshl_or_b32 v0, v1, 16, v0
	global_store_b32 v[35:36], v0, off
	v_mul_f16_e32 v0, v23, v15
	s_delay_alu instid0(VALU_DEP_1) | instskip(NEXT) | instid1(VALU_DEP_1)
	v_fma_f16 v0, v24, v6, -v0
	v_cvt_f32_f16_e32 v0, v0
	s_delay_alu instid0(VALU_DEP_1) | instskip(NEXT) | instid1(VALU_DEP_1)
	v_cvt_f64_f32_e32 v[0:1], v0
	v_mul_f64_e32 v[17:18], s[10:11], v[0:1]
	s_delay_alu instid0(VALU_DEP_1) | instskip(SKIP_2) | instid1(VALU_DEP_3)
	v_and_or_b32 v0, 0x1ff, v18, v17
	v_lshrrev_b32_e32 v1, 8, v18
	v_bfe_u32 v20, v18, 20, 11
	v_cmp_ne_u32_e32 vcc_lo, 0, v0
	s_wait_alu 0xfffd
	v_cndmask_b32_e64 v0, 0, 1, vcc_lo
	s_delay_alu instid0(VALU_DEP_1) | instskip(SKIP_1) | instid1(VALU_DEP_2)
	v_and_or_b32 v17, 0xffe, v1, v0
	v_sub_nc_u32_e32 v0, 0x3f1, v20
	v_or_b32_e32 v1, 0x1000, v17
	s_delay_alu instid0(VALU_DEP_2) | instskip(NEXT) | instid1(VALU_DEP_1)
	v_med3_i32 v0, v0, 0, 13
	v_lshrrev_b32_e32 v21, v0, v1
	s_delay_alu instid0(VALU_DEP_1) | instskip(NEXT) | instid1(VALU_DEP_1)
	v_lshlrev_b32_e32 v0, v0, v21
	v_cmp_ne_u32_e64 s1, v0, v1
	scratch_load_b32 v1, off, off offset:212 th:TH_LOAD_LU ; 4-byte Folded Reload
	v_lshrrev_b32_e32 v0, 16, v12
	s_wait_loadcnt 0x0
	s_delay_alu instid0(VALU_DEP_1) | instskip(SKIP_1) | instid1(VALU_DEP_2)
	v_mul_f16_e32 v5, v1, v0
	v_mul_f16_e32 v1, v1, v12
	v_fmac_f16_e32 v5, v7, v12
	s_delay_alu instid0(VALU_DEP_2) | instskip(SKIP_1) | instid1(VALU_DEP_1)
	v_fma_f16 v11, v7, v0, -v1
	v_cvt_f32_f16_e32 v0, v8
	v_cvt_f64_f32_e32 v[0:1], v0
	s_delay_alu instid0(VALU_DEP_1) | instskip(NEXT) | instid1(VALU_DEP_1)
	v_mul_f64_e32 v[0:1], s[10:11], v[0:1]
	v_and_or_b32 v0, 0x1ff, v1, v0
	v_lshrrev_b32_e32 v7, 8, v1
	s_delay_alu instid0(VALU_DEP_2) | instskip(SKIP_2) | instid1(VALU_DEP_1)
	v_cmp_ne_u32_e32 vcc_lo, 0, v0
	s_wait_alu 0xfffd
	v_cndmask_b32_e64 v0, 0, 1, vcc_lo
	v_and_or_b32 v0, 0xffe, v7, v0
	v_bfe_u32 v7, v1, 20, 11
	v_lshrrev_b32_e32 v1, 16, v1
	s_delay_alu instid0(VALU_DEP_3) | instskip(NEXT) | instid1(VALU_DEP_3)
	v_or_b32_e32 v22, 0x1000, v0
	v_sub_nc_u32_e32 v8, 0x3f1, v7
	v_add_nc_u32_e32 v7, 0xfffffc10, v7
	v_cmp_ne_u32_e64 s6, 0, v0
	s_delay_alu instid0(VALU_DEP_3) | instskip(NEXT) | instid1(VALU_DEP_1)
	v_med3_i32 v12, v8, 0, 13
	v_lshrrev_b32_e32 v8, v12, v22
	s_delay_alu instid0(VALU_DEP_1) | instskip(NEXT) | instid1(VALU_DEP_1)
	v_lshlrev_b32_e32 v12, v12, v8
	v_cmp_ne_u32_e32 vcc_lo, v12, v22
	scratch_load_b32 v22, off, off offset:204 th:TH_LOAD_LU ; 4-byte Folded Reload
	v_mul_f16_e32 v12, v23, v6
	scratch_load_b32 v23, off, off offset:192 th:TH_LOAD_LU ; 4-byte Folded Reload
	v_fmac_f16_e32 v12, v24, v15
	v_lshrrev_b32_e32 v15, 16, v16
	s_wait_loadcnt 0x1
	s_delay_alu instid0(VALU_DEP_1) | instskip(SKIP_2) | instid1(VALU_DEP_2)
	v_mul_f16_e32 v6, v22, v15
	v_mul_f16_e32 v22, v22, v16
	s_wait_loadcnt 0x0
	v_fmac_f16_e32 v6, v23, v16
	s_delay_alu instid0(VALU_DEP_2) | instskip(SKIP_1) | instid1(VALU_DEP_3)
	v_fma_f16 v22, v23, v15, -v22
	v_cvt_f32_f16_e32 v15, v19
	v_cvt_f32_f16_e32 v6, v6
	s_delay_alu instid0(VALU_DEP_2) | instskip(NEXT) | instid1(VALU_DEP_1)
	v_cvt_f64_f32_e32 v[15:16], v15
	v_mul_f64_e32 v[15:16], s[10:11], v[15:16]
	s_delay_alu instid0(VALU_DEP_1) | instskip(SKIP_1) | instid1(VALU_DEP_2)
	v_and_or_b32 v15, 0x1ff, v16, v15
	v_lshrrev_b32_e32 v19, 8, v16
	v_cmp_ne_u32_e64 s2, 0, v15
	s_wait_alu 0xf1ff
	s_delay_alu instid0(VALU_DEP_1) | instskip(NEXT) | instid1(VALU_DEP_1)
	v_cndmask_b32_e64 v15, 0, 1, s2
	v_and_or_b32 v15, 0xffe, v19, v15
	v_bfe_u32 v19, v16, 20, 11
	v_lshrrev_b32_e32 v16, 16, v16
	s_delay_alu instid0(VALU_DEP_3) | instskip(NEXT) | instid1(VALU_DEP_3)
	v_or_b32_e32 v24, 0x1000, v15
	v_sub_nc_u32_e32 v23, 0x3f1, v19
	v_add_nc_u32_e32 v19, 0xfffffc10, v19
	v_cmp_ne_u32_e64 s4, 0, v15
	s_delay_alu instid0(VALU_DEP_3) | instskip(NEXT) | instid1(VALU_DEP_1)
	v_med3_i32 v23, v23, 0, 13
	v_lshrrev_b32_e32 v25, v23, v24
	s_delay_alu instid0(VALU_DEP_1) | instskip(NEXT) | instid1(VALU_DEP_1)
	v_lshlrev_b32_e32 v23, v23, v25
	v_cmp_ne_u32_e64 s2, v23, v24
	v_lshl_or_b32 v24, v19, 12, v15
	v_cndmask_b32_e64 v15, 0, 1, s0
	v_cmp_gt_i32_e64 s0, 1, v9
	s_wait_alu 0xf1ff
	v_cndmask_b32_e64 v23, 0, 1, s2
	v_cmp_gt_i32_e64 s2, 1, v19
	v_or_b32_e32 v10, v10, v15
	v_lshl_or_b32 v15, v9, 12, v3
	s_delay_alu instid0(VALU_DEP_4)
	v_or_b32_e32 v23, v25, v23
	s_clause 0x1
	scratch_load_b32 v25, off, off offset:188 th:TH_LOAD_LU
	scratch_load_b32 v27, off, off offset:180 th:TH_LOAD_LU
	v_cndmask_b32_e64 v10, v15, v10, s0
	s_wait_alu 0xf1ff
	v_cndmask_b32_e64 v23, v24, v23, s2
	s_delay_alu instid0(VALU_DEP_1) | instskip(SKIP_2) | instid1(VALU_DEP_3)
	v_and_b32_e32 v24, 7, v23
	v_lshrrev_b32_e32 v15, 2, v23
	v_cndmask_b32_e64 v23, 0, 1, s4
	v_cmp_lt_i32_e64 s2, 5, v24
	v_cmp_eq_u32_e64 s3, 3, v24
	s_delay_alu instid0(VALU_DEP_3)
	v_lshl_or_b32 v23, v23, 9, 0x7c00
	scratch_load_b32 v24, off, off offset:184 th:TH_LOAD_LU ; 4-byte Folded Reload
	s_or_b32 s0, s3, s2
	v_cmp_ne_u32_e64 s3, 0, v3
	s_wait_alu 0xfffe
	v_add_co_ci_u32_e64 v15, s0, 0, v15, s0
	v_cmp_gt_i32_e64 s0, 31, v19
	v_lshrrev_b32_e32 v3, 2, v10
	s_wait_alu 0xf1ff
	s_delay_alu instid0(VALU_DEP_2) | instskip(SKIP_4) | instid1(VALU_DEP_3)
	v_cndmask_b32_e64 v15, 0x7c00, v15, s0
	v_cmp_eq_u32_e64 s0, 0x40f, v19
	v_and_b32_e32 v19, 7, v10
	v_cndmask_b32_e64 v10, 0, 1, s3
	s_wait_alu 0xf1ff
	v_cndmask_b32_e64 v15, v15, v23, s0
	s_delay_alu instid0(VALU_DEP_3) | instskip(SKIP_2) | instid1(VALU_DEP_2)
	v_cmp_lt_i32_e64 s0, 5, v19
	v_cmp_eq_u32_e64 s2, 3, v19
	v_lshl_or_b32 v10, v10, 9, 0x7c00
	s_or_b32 s0, s2, s0
	s_wait_alu 0xfffe
	v_add_co_ci_u32_e64 v3, s0, 0, v3, s0
	v_cmp_gt_i32_e64 s0, 31, v9
	s_wait_alu 0xf1ff
	s_delay_alu instid0(VALU_DEP_1) | instskip(SKIP_3) | instid1(VALU_DEP_2)
	v_cndmask_b32_e64 v3, 0x7c00, v3, s0
	v_cmp_eq_u32_e64 s0, 0x40f, v9
	v_and_or_b32 v9, 0x8000, v16, v15
	s_wait_alu 0xf1ff
	v_cndmask_b32_e64 v3, v3, v10, s0
	s_delay_alu instid0(VALU_DEP_1) | instskip(NEXT) | instid1(VALU_DEP_3)
	v_and_or_b32 v2, 0x8000, v2, v3
	v_and_b32_e32 v3, 0xffff, v9
	v_cvt_f32_f16_e32 v9, v12
	s_delay_alu instid0(VALU_DEP_2) | instskip(NEXT) | instid1(VALU_DEP_2)
	v_lshl_or_b32 v2, v2, 16, v3
	v_cvt_f64_f32_e32 v[9:10], v9
	global_store_b32 v[13:14], v2, off
	v_add_co_u32 v2, s0, v13, s14
	s_wait_alu 0xf1ff
	v_add_co_ci_u32_e64 v3, s0, s15, v14, s0
	v_mul_f64_e32 v[9:10], s[10:11], v[9:10]
	s_delay_alu instid0(VALU_DEP_1) | instskip(SKIP_1) | instid1(VALU_DEP_2)
	v_and_or_b32 v9, 0x1ff, v10, v9
	v_lshrrev_b32_e32 v12, 8, v10
	v_cmp_ne_u32_e64 s0, 0, v9
	s_wait_alu 0xf1ff
	s_delay_alu instid0(VALU_DEP_1) | instskip(NEXT) | instid1(VALU_DEP_1)
	v_cndmask_b32_e64 v9, 0, 1, s0
	v_and_or_b32 v9, 0xffe, v12, v9
	v_bfe_u32 v12, v10, 20, 11
	v_lshrrev_b32_e32 v10, 16, v10
	s_delay_alu instid0(VALU_DEP_3) | instskip(NEXT) | instid1(VALU_DEP_3)
	v_or_b32_e32 v14, 0x1000, v9
	v_sub_nc_u32_e32 v13, 0x3f1, v12
	v_add_nc_u32_e32 v12, 0xfffffc10, v12
	v_cmp_ne_u32_e64 s3, 0, v9
	s_delay_alu instid0(VALU_DEP_3) | instskip(NEXT) | instid1(VALU_DEP_1)
	v_med3_i32 v13, v13, 0, 13
	v_lshrrev_b32_e32 v15, v13, v14
	s_delay_alu instid0(VALU_DEP_1) | instskip(NEXT) | instid1(VALU_DEP_1)
	v_lshlrev_b32_e32 v13, v13, v15
	v_cmp_ne_u32_e64 s0, v13, v14
	v_lshl_or_b32 v14, v12, 12, v9
	v_cndmask_b32_e64 v9, 0, 1, s1
	s_wait_alu 0xf1ff
	s_delay_alu instid0(VALU_DEP_3) | instskip(SKIP_1) | instid1(VALU_DEP_3)
	v_cndmask_b32_e64 v13, 0, 1, s0
	v_cmp_gt_i32_e64 s0, 1, v12
	v_or_b32_e32 v9, v21, v9
	s_delay_alu instid0(VALU_DEP_3) | instskip(SKIP_1) | instid1(VALU_DEP_1)
	v_or_b32_e32 v13, v15, v13
	s_wait_alu 0xf1ff
	v_cndmask_b32_e64 v13, v14, v13, s0
	s_delay_alu instid0(VALU_DEP_1) | instskip(SKIP_1) | instid1(VALU_DEP_2)
	v_and_b32_e32 v14, 7, v13
	v_lshrrev_b32_e32 v13, 2, v13
	v_cmp_lt_i32_e64 s0, 5, v14
	v_cmp_eq_u32_e64 s2, 3, v14
	v_add_nc_u32_e32 v14, 0xfffffc10, v20
	s_delay_alu instid0(VALU_DEP_2) | instskip(NEXT) | instid1(VALU_DEP_1)
	s_or_b32 s0, s2, s0
	v_lshl_or_b32 v15, v14, 12, v17
	v_cmp_gt_i32_e64 s1, 1, v14
	s_wait_alu 0xfffe
	v_add_co_ci_u32_e64 v13, s0, 0, v13, s0
	v_cmp_gt_i32_e64 s0, 31, v12
	v_cmp_ne_u32_e64 s2, 0, v17
	s_wait_alu 0xf1ff
	v_cndmask_b32_e64 v9, v15, v9, s1
	v_cndmask_b32_e64 v15, 0, 1, s3
	;; [unrolled: 1-line block ×3, first 2 shown]
	v_cmp_eq_u32_e64 s0, 0x40f, v12
	s_delay_alu instid0(VALU_DEP_3) | instskip(SKIP_1) | instid1(VALU_DEP_1)
	v_lshl_or_b32 v15, v15, 9, 0x7c00
	s_wait_alu 0xf1ff
	v_cndmask_b32_e64 v12, v13, v15, s0
	v_and_b32_e32 v13, 7, v9
	v_lshrrev_b32_e32 v9, 2, v9
	s_delay_alu instid0(VALU_DEP_3) | instskip(NEXT) | instid1(VALU_DEP_3)
	v_and_or_b32 v10, 0x8000, v10, v12
	v_cmp_lt_i32_e64 s0, 5, v13
	v_cmp_eq_u32_e64 s1, 3, v13
	v_cndmask_b32_e64 v13, 0, 1, s2
	s_delay_alu instid0(VALU_DEP_4) | instskip(NEXT) | instid1(VALU_DEP_3)
	v_and_b32_e32 v10, 0xffff, v10
	s_or_b32 s0, s1, s0
	s_delay_alu instid0(VALU_DEP_2) | instskip(SKIP_4) | instid1(VALU_DEP_1)
	v_lshl_or_b32 v13, v13, 9, 0x7c00
	s_wait_alu 0xfffe
	v_add_co_ci_u32_e64 v9, s0, 0, v9, s0
	v_cmp_gt_i32_e64 s0, 31, v14
	s_wait_alu 0xf1ff
	v_cndmask_b32_e64 v9, 0x7c00, v9, s0
	v_cmp_eq_u32_e64 s0, 0x40f, v14
	s_wait_alu 0xf1ff
	s_delay_alu instid0(VALU_DEP_1) | instskip(SKIP_2) | instid1(VALU_DEP_2)
	v_cndmask_b32_e64 v9, v9, v13, s0
	v_lshrrev_b32_e32 v13, 16, v18
	v_add_co_u32 v12, s0, v2, s8
	v_and_or_b32 v9, 0x8000, v13, v9
	s_wait_alu 0xf1ff
	v_add_co_ci_u32_e64 v13, s0, s9, v3, s0
	s_delay_alu instid0(VALU_DEP_2) | instskip(SKIP_2) | instid1(VALU_DEP_1)
	v_lshl_or_b32 v9, v9, 16, v10
	global_store_b32 v[2:3], v9, off
	v_cvt_f32_f16_e32 v2, v11
	v_cvt_f64_f32_e32 v[2:3], v2
	s_delay_alu instid0(VALU_DEP_1) | instskip(NEXT) | instid1(VALU_DEP_1)
	v_mul_f64_e32 v[10:11], s[10:11], v[2:3]
	v_and_or_b32 v2, 0x1ff, v11, v10
	v_lshrrev_b32_e32 v3, 8, v11
	v_bfe_u32 v17, v11, 20, 11
	v_lshrrev_b32_e32 v11, 16, v11
	s_delay_alu instid0(VALU_DEP_4) | instskip(SKIP_1) | instid1(VALU_DEP_1)
	v_cmp_ne_u32_e64 s0, 0, v2
	s_wait_alu 0xf1ff
	v_cndmask_b32_e64 v2, 0, 1, s0
	s_delay_alu instid0(VALU_DEP_1) | instskip(SKIP_1) | instid1(VALU_DEP_2)
	v_and_or_b32 v16, 0xffe, v3, v2
	v_sub_nc_u32_e32 v2, 0x3f1, v17
	v_or_b32_e32 v3, 0x1000, v16
	s_delay_alu instid0(VALU_DEP_2) | instskip(NEXT) | instid1(VALU_DEP_1)
	v_med3_i32 v2, v2, 0, 13
	v_lshrrev_b32_e32 v18, v2, v3
	s_delay_alu instid0(VALU_DEP_1) | instskip(NEXT) | instid1(VALU_DEP_1)
	v_lshlrev_b32_e32 v2, v2, v18
	v_cmp_ne_u32_e64 s1, v2, v3
	v_cvt_f32_f16_e32 v2, v22
	s_delay_alu instid0(VALU_DEP_1) | instskip(NEXT) | instid1(VALU_DEP_1)
	v_cvt_f64_f32_e32 v[2:3], v2
	v_mul_f64_e32 v[2:3], s[10:11], v[2:3]
	s_delay_alu instid0(VALU_DEP_1) | instskip(SKIP_1) | instid1(VALU_DEP_2)
	v_and_or_b32 v2, 0x1ff, v3, v2
	v_lshrrev_b32_e32 v9, 8, v3
	v_cmp_ne_u32_e64 s0, 0, v2
	s_wait_alu 0xf1ff
	s_delay_alu instid0(VALU_DEP_1) | instskip(NEXT) | instid1(VALU_DEP_1)
	v_cndmask_b32_e64 v2, 0, 1, s0
	v_and_or_b32 v2, 0xffe, v9, v2
	v_bfe_u32 v9, v3, 20, 11
	v_lshrrev_b32_e32 v3, 16, v3
	s_delay_alu instid0(VALU_DEP_3) | instskip(NEXT) | instid1(VALU_DEP_3)
	v_or_b32_e32 v15, 0x1000, v2
	v_sub_nc_u32_e32 v10, 0x3f1, v9
	v_add_nc_u32_e32 v9, 0xfffffc10, v9
	s_delay_alu instid0(VALU_DEP_2) | instskip(NEXT) | instid1(VALU_DEP_1)
	v_med3_i32 v14, v10, 0, 13
	v_lshrrev_b32_e32 v10, v14, v15
	s_delay_alu instid0(VALU_DEP_1) | instskip(NEXT) | instid1(VALU_DEP_1)
	v_lshlrev_b32_e32 v14, v14, v10
	v_cmp_ne_u32_e64 s0, v14, v15
	v_cvt_f64_f32_e32 v[14:15], v4
	s_delay_alu instid0(VALU_DEP_1) | instskip(NEXT) | instid1(VALU_DEP_1)
	v_mul_f64_e32 v[14:15], s[10:11], v[14:15]
	v_and_or_b32 v4, 0x1ff, v15, v14
	v_lshrrev_b32_e32 v14, 8, v15
	s_delay_alu instid0(VALU_DEP_2) | instskip(SKIP_1) | instid1(VALU_DEP_1)
	v_cmp_ne_u32_e64 s2, 0, v4
	s_wait_alu 0xf1ff
	v_cndmask_b32_e64 v4, 0, 1, s2
	s_delay_alu instid0(VALU_DEP_1) | instskip(SKIP_1) | instid1(VALU_DEP_2)
	v_and_or_b32 v4, 0xffe, v14, v4
	v_bfe_u32 v14, v15, 20, 11
	v_or_b32_e32 v20, 0x1000, v4
	s_delay_alu instid0(VALU_DEP_2) | instskip(SKIP_2) | instid1(VALU_DEP_3)
	v_sub_nc_u32_e32 v19, 0x3f1, v14
	v_add_nc_u32_e32 v14, 0xfffffc10, v14
	v_cmp_ne_u32_e64 s3, 0, v4
	v_med3_i32 v19, v19, 0, 13
	s_delay_alu instid0(VALU_DEP_1) | instskip(NEXT) | instid1(VALU_DEP_1)
	v_lshrrev_b32_e32 v21, v19, v20
	v_lshlrev_b32_e32 v19, v19, v21
	s_delay_alu instid0(VALU_DEP_1) | instskip(SKIP_2) | instid1(VALU_DEP_2)
	v_cmp_ne_u32_e64 s2, v19, v20
	v_lshl_or_b32 v20, v14, 12, v4
	s_wait_alu 0xf1ff
	v_cndmask_b32_e64 v19, 0, 1, s2
	v_cmp_gt_i32_e64 s2, 1, v14
	s_delay_alu instid0(VALU_DEP_2) | instskip(SKIP_1) | instid1(VALU_DEP_1)
	v_or_b32_e32 v19, v21, v19
	s_wait_alu 0xf1ff
	v_cndmask_b32_e64 v19, v20, v19, s2
	s_wait_alu 0xfffd
	v_cndmask_b32_e64 v20, 0, 1, vcc_lo
	v_cmp_gt_i32_e32 vcc_lo, 1, v7
	s_delay_alu instid0(VALU_DEP_2) | instskip(SKIP_3) | instid1(VALU_DEP_2)
	v_or_b32_e32 v8, v8, v20
	v_lshl_or_b32 v20, v7, 12, v0
	v_lshrrev_b32_e32 v0, 2, v19
	s_wait_alu 0xfffd
	v_cndmask_b32_e32 v8, v20, v8, vcc_lo
	v_and_b32_e32 v20, 7, v19
	s_delay_alu instid0(VALU_DEP_2) | instskip(NEXT) | instid1(VALU_DEP_2)
	v_and_b32_e32 v4, 7, v8
	v_cmp_lt_i32_e32 vcc_lo, 5, v20
	v_cmp_eq_u32_e64 s2, 3, v20
	v_lshrrev_b32_e32 v8, 2, v8
	s_delay_alu instid0(VALU_DEP_4) | instskip(SKIP_1) | instid1(VALU_DEP_4)
	v_cmp_lt_i32_e64 s4, 5, v4
	v_cmp_eq_u32_e64 s5, 3, v4
	s_or_b32 vcc_lo, s2, vcc_lo
	v_cndmask_b32_e64 v4, 0, 1, s3
	s_wait_alu 0xfffe
	v_add_co_ci_u32_e32 v0, vcc_lo, 0, v0, vcc_lo
	v_cmp_gt_i32_e32 vcc_lo, 31, v14
	s_delay_alu instid0(VALU_DEP_3) | instskip(SKIP_1) | instid1(VALU_DEP_3)
	v_lshl_or_b32 v4, v4, 9, 0x7c00
	s_wait_alu 0xfffd
	v_cndmask_b32_e32 v0, 0x7c00, v0, vcc_lo
	v_cmp_eq_u32_e32 vcc_lo, 0x40f, v14
	v_cndmask_b32_e64 v14, 0, 1, s6
	s_wait_alu 0xfffd
	s_delay_alu instid0(VALU_DEP_3) | instskip(SKIP_1) | instid1(VALU_DEP_2)
	v_cndmask_b32_e32 v0, v0, v4, vcc_lo
	s_or_b32 vcc_lo, s5, s4
	v_lshl_or_b32 v14, v14, 9, 0x7c00
	s_wait_alu 0xfffe
	v_add_co_ci_u32_e32 v8, vcc_lo, 0, v8, vcc_lo
	v_cmp_gt_i32_e32 vcc_lo, 31, v7
	v_lshrrev_b32_e32 v4, 16, v15
	s_wait_alu 0xfffd
	s_delay_alu instid0(VALU_DEP_3) | instskip(SKIP_1) | instid1(VALU_DEP_3)
	v_cndmask_b32_e32 v8, 0x7c00, v8, vcc_lo
	v_cmp_eq_u32_e32 vcc_lo, 0x40f, v7
	v_and_or_b32 v0, 0x8000, v4, v0
	s_wait_alu 0xfffd
	s_delay_alu instid0(VALU_DEP_3) | instskip(SKIP_3) | instid1(VALU_DEP_1)
	v_cndmask_b32_e32 v7, v8, v14, vcc_lo
	ds_load_2addr_b32 v[14:15], v238 offset0:52 offset1:142
	v_and_b32_e32 v0, 0xffff, v0
	v_and_or_b32 v1, 0x8000, v1, v7
	v_lshl_or_b32 v0, v1, 16, v0
	global_store_b32 v[12:13], v0, off
	v_add_co_u32 v12, vcc_lo, v12, s14
	s_wait_alu 0xfffd
	v_add_co_ci_u32_e32 v13, vcc_lo, s15, v13, vcc_lo
	s_wait_dscnt 0x0
	v_lshrrev_b32_e32 v20, 16, v14
	s_wait_loadcnt 0x0
	v_mul_f16_e32 v0, v24, v14
	s_delay_alu instid0(VALU_DEP_1) | instskip(SKIP_1) | instid1(VALU_DEP_2)
	v_fma_f16 v0, v25, v20, -v0
	v_mul_f16_e32 v20, v24, v20
	v_cvt_f32_f16_e32 v0, v0
	s_delay_alu instid0(VALU_DEP_2) | instskip(SKIP_1) | instid1(VALU_DEP_3)
	v_fmac_f16_e32 v20, v25, v14
	v_lshrrev_b32_e32 v14, 16, v15
	v_cvt_f64_f32_e32 v[0:1], v0
	s_delay_alu instid0(VALU_DEP_1) | instskip(NEXT) | instid1(VALU_DEP_1)
	v_mul_f64_e32 v[0:1], s[10:11], v[0:1]
	v_and_or_b32 v0, 0x1ff, v1, v0
	v_lshrrev_b32_e32 v4, 8, v1
	v_bfe_u32 v7, v1, 20, 11
	v_lshrrev_b32_e32 v1, 16, v1
	s_delay_alu instid0(VALU_DEP_4) | instskip(SKIP_2) | instid1(VALU_DEP_1)
	v_cmp_ne_u32_e32 vcc_lo, 0, v0
	s_wait_alu 0xfffd
	v_cndmask_b32_e64 v0, 0, 1, vcc_lo
	v_and_or_b32 v0, 0xffe, v4, v0
	v_sub_nc_u32_e32 v4, 0x3f1, v7
	v_add_nc_u32_e32 v7, 0xfffffc10, v7
	s_delay_alu instid0(VALU_DEP_3) | instskip(NEXT) | instid1(VALU_DEP_3)
	v_or_b32_e32 v19, 0x1000, v0
	v_med3_i32 v4, v4, 0, 13
	s_delay_alu instid0(VALU_DEP_1) | instskip(NEXT) | instid1(VALU_DEP_1)
	v_lshrrev_b32_e32 v8, v4, v19
	v_lshlrev_b32_e32 v4, v4, v8
	s_delay_alu instid0(VALU_DEP_1) | instskip(SKIP_1) | instid1(VALU_DEP_1)
	v_cmp_ne_u32_e32 vcc_lo, v4, v19
	v_cvt_f32_f16_e32 v4, v5
	v_cvt_f64_f32_e32 v[4:5], v4
	s_delay_alu instid0(VALU_DEP_1) | instskip(NEXT) | instid1(VALU_DEP_1)
	v_mul_f64_e32 v[4:5], s[10:11], v[4:5]
	v_and_or_b32 v4, 0x1ff, v5, v4
	v_lshrrev_b32_e32 v19, 8, v5
	s_delay_alu instid0(VALU_DEP_2) | instskip(SKIP_1) | instid1(VALU_DEP_1)
	v_cmp_ne_u32_e64 s2, 0, v4
	s_wait_alu 0xf1ff
	v_cndmask_b32_e64 v4, 0, 1, s2
	s_delay_alu instid0(VALU_DEP_1) | instskip(SKIP_2) | instid1(VALU_DEP_3)
	v_and_or_b32 v4, 0xffe, v19, v4
	v_bfe_u32 v19, v5, 20, 11
	v_lshrrev_b32_e32 v5, 16, v5
	v_or_b32_e32 v22, 0x1000, v4
	s_delay_alu instid0(VALU_DEP_3) | instskip(SKIP_1) | instid1(VALU_DEP_2)
	v_sub_nc_u32_e32 v21, 0x3f1, v19
	v_add_nc_u32_e32 v19, 0xfffffc10, v19
	v_med3_i32 v21, v21, 0, 13
	s_delay_alu instid0(VALU_DEP_1) | instskip(NEXT) | instid1(VALU_DEP_1)
	v_lshrrev_b32_e32 v23, v21, v22
	v_lshlrev_b32_e32 v21, v21, v23
	s_delay_alu instid0(VALU_DEP_1) | instskip(SKIP_2) | instid1(VALU_DEP_2)
	v_cmp_ne_u32_e64 s2, v21, v22
	v_lshl_or_b32 v22, v19, 12, v4
	s_wait_alu 0xf1ff
	v_cndmask_b32_e64 v21, 0, 1, s2
	v_cmp_gt_i32_e64 s2, 1, v19
	s_delay_alu instid0(VALU_DEP_2) | instskip(SKIP_3) | instid1(VALU_DEP_1)
	v_or_b32_e32 v21, v23, v21
	scratch_load_b32 v23, off, off offset:168 th:TH_LOAD_LU ; 4-byte Folded Reload
	s_wait_alu 0xf1ff
	v_cndmask_b32_e64 v21, v22, v21, s2
	v_and_b32_e32 v22, 7, v21
	s_delay_alu instid0(VALU_DEP_1) | instskip(SKIP_4) | instid1(VALU_DEP_4)
	v_cmp_lt_i32_e64 s2, 5, v22
	v_cmp_eq_u32_e64 s3, 3, v22
	v_cndmask_b32_e64 v22, 0, 1, s1
	v_cmp_ne_u32_e64 s1, 0, v4
	v_add_nc_u32_e32 v4, 0xfffffc10, v17
	s_or_b32 s2, s3, s2
	s_delay_alu instid0(VALU_DEP_3) | instskip(SKIP_1) | instid1(VALU_DEP_3)
	v_or_b32_e32 v18, v18, v22
	v_cmp_ne_u32_e64 s3, 0, v16
	v_lshl_or_b32 v17, v4, 12, v16
	v_cmp_gt_i32_e64 s4, 1, v4
	s_wait_alu 0xf1ff
	s_delay_alu instid0(VALU_DEP_1) | instskip(SKIP_3) | instid1(VALU_DEP_4)
	v_cndmask_b32_e64 v17, v17, v18, s4
	v_lshrrev_b32_e32 v18, 2, v21
	v_cndmask_b32_e64 v21, 0, 1, s1
	v_cmp_eq_u32_e64 s1, 0x40f, v19
	v_lshrrev_b32_e32 v16, 2, v17
	s_wait_alu 0xfffe
	v_add_co_ci_u32_e64 v18, s2, 0, v18, s2
	v_cmp_gt_i32_e64 s2, 31, v19
	v_lshl_or_b32 v21, v21, 9, 0x7c00
	v_and_b32_e32 v19, 7, v17
	v_cndmask_b32_e64 v17, 0, 1, s3
	s_wait_alu 0xf1ff
	v_cndmask_b32_e64 v18, 0x7c00, v18, s2
	s_delay_alu instid0(VALU_DEP_3) | instskip(NEXT) | instid1(VALU_DEP_3)
	v_cmp_eq_u32_e64 s2, 3, v19
	v_lshl_or_b32 v17, v17, 9, 0x7c00
	s_delay_alu instid0(VALU_DEP_3) | instskip(SKIP_1) | instid1(VALU_DEP_2)
	v_cndmask_b32_e64 v18, v18, v21, s1
	v_cmp_lt_i32_e64 s1, 5, v19
	v_and_or_b32 v5, 0x8000, v5, v18
	s_delay_alu instid0(VALU_DEP_2)
	s_or_b32 s1, s2, s1
	ds_load_2addr_b32 v[18:19], v241 offset0:56 offset1:146
	s_wait_alu 0xfffe
	v_add_co_ci_u32_e64 v16, s1, 0, v16, s1
	v_cmp_gt_i32_e64 s1, 31, v4
	v_and_b32_e32 v5, 0xffff, v5
	s_wait_alu 0xf1ff
	s_delay_alu instid0(VALU_DEP_2) | instskip(SKIP_2) | instid1(VALU_DEP_1)
	v_cndmask_b32_e64 v16, 0x7c00, v16, s1
	v_cmp_eq_u32_e64 s1, 0x40f, v4
	s_wait_alu 0xf1ff
	v_cndmask_b32_e64 v4, v16, v17, s1
	v_add_co_u32 v16, s1, v12, s14
	s_wait_alu 0xf1ff
	v_add_co_ci_u32_e64 v17, s1, s15, v13, s1
	s_delay_alu instid0(VALU_DEP_3) | instskip(SKIP_2) | instid1(VALU_DEP_2)
	v_and_or_b32 v4, 0x8000, v11, v4
	s_wait_dscnt 0x0
	v_lshrrev_b32_e32 v21, 16, v18
	v_lshl_or_b32 v4, v4, 16, v5
	global_store_b32 v[12:13], v4, off
	v_mul_f16_e32 v4, v26, v18
	s_delay_alu instid0(VALU_DEP_1) | instskip(SKIP_1) | instid1(VALU_DEP_2)
	v_fma_f16 v4, v27, v21, -v4
	v_mul_f16_e32 v21, v26, v21
	v_cvt_f32_f16_e32 v4, v4
	s_delay_alu instid0(VALU_DEP_2) | instskip(SKIP_2) | instid1(VALU_DEP_1)
	v_fmac_f16_e32 v21, v27, v18
	scratch_load_b32 v18, off, off offset:152 th:TH_LOAD_LU ; 4-byte Folded Reload
	v_cvt_f64_f32_e32 v[4:5], v4
	v_mul_f64_e32 v[4:5], s[10:11], v[4:5]
	s_delay_alu instid0(VALU_DEP_1) | instskip(SKIP_3) | instid1(VALU_DEP_4)
	v_and_or_b32 v4, 0x1ff, v5, v4
	v_lshrrev_b32_e32 v11, 8, v5
	v_bfe_u32 v12, v5, 20, 11
	v_lshrrev_b32_e32 v5, 16, v5
	v_cmp_ne_u32_e64 s1, 0, v4
	s_wait_alu 0xf1ff
	s_delay_alu instid0(VALU_DEP_1) | instskip(NEXT) | instid1(VALU_DEP_1)
	v_cndmask_b32_e64 v4, 0, 1, s1
	v_and_or_b32 v11, 0xffe, v11, v4
	v_sub_nc_u32_e32 v4, 0x3f1, v12
	v_add_nc_u32_e32 v12, 0xfffffc10, v12
	s_delay_alu instid0(VALU_DEP_3) | instskip(NEXT) | instid1(VALU_DEP_3)
	v_or_b32_e32 v22, 0x1000, v11
	v_med3_i32 v4, v4, 0, 13
	s_delay_alu instid0(VALU_DEP_1) | instskip(NEXT) | instid1(VALU_DEP_1)
	v_lshrrev_b32_e32 v13, v4, v22
	v_lshlrev_b32_e32 v4, v4, v13
	s_delay_alu instid0(VALU_DEP_1) | instskip(SKIP_4) | instid1(VALU_DEP_2)
	v_cmp_ne_u32_e64 s1, v4, v22
	scratch_load_b32 v22, off, off offset:172 th:TH_LOAD_LU ; 4-byte Folded Reload
	s_wait_loadcnt 0x0
	v_mul_f16_e32 v4, v22, v14
	v_mul_f16_e32 v22, v22, v15
	v_fmac_f16_e32 v4, v23, v15
	s_delay_alu instid0(VALU_DEP_2) | instskip(SKIP_1) | instid1(VALU_DEP_3)
	v_fma_f16 v22, v23, v14, -v22
	v_cvt_f64_f32_e32 v[14:15], v6
	v_cvt_f32_f16_e32 v4, v4
	s_delay_alu instid0(VALU_DEP_2) | instskip(NEXT) | instid1(VALU_DEP_1)
	v_mul_f64_e32 v[14:15], s[10:11], v[14:15]
	v_and_or_b32 v6, 0x1ff, v15, v14
	v_lshrrev_b32_e32 v14, 8, v15
	s_delay_alu instid0(VALU_DEP_2) | instskip(SKIP_1) | instid1(VALU_DEP_1)
	v_cmp_ne_u32_e64 s2, 0, v6
	s_wait_alu 0xf1ff
	v_cndmask_b32_e64 v6, 0, 1, s2
	s_delay_alu instid0(VALU_DEP_1) | instskip(SKIP_1) | instid1(VALU_DEP_2)
	v_and_or_b32 v6, 0xffe, v14, v6
	v_bfe_u32 v14, v15, 20, 11
	v_or_b32_e32 v24, 0x1000, v6
	s_delay_alu instid0(VALU_DEP_2) | instskip(SKIP_2) | instid1(VALU_DEP_3)
	v_sub_nc_u32_e32 v23, 0x3f1, v14
	v_add_nc_u32_e32 v14, 0xfffffc10, v14
	v_cmp_ne_u32_e64 s3, 0, v6
	v_med3_i32 v23, v23, 0, 13
	s_delay_alu instid0(VALU_DEP_1) | instskip(NEXT) | instid1(VALU_DEP_1)
	v_lshrrev_b32_e32 v25, v23, v24
	v_lshlrev_b32_e32 v23, v23, v25
	s_delay_alu instid0(VALU_DEP_1) | instskip(SKIP_2) | instid1(VALU_DEP_2)
	v_cmp_ne_u32_e64 s2, v23, v24
	v_lshl_or_b32 v24, v14, 12, v6
	s_wait_alu 0xf1ff
	v_cndmask_b32_e64 v23, 0, 1, s2
	v_cmp_gt_i32_e64 s2, 1, v14
	s_delay_alu instid0(VALU_DEP_2) | instskip(SKIP_1) | instid1(VALU_DEP_1)
	v_or_b32_e32 v23, v25, v23
	s_wait_alu 0xf1ff
	v_cndmask_b32_e64 v23, v24, v23, s2
	v_cndmask_b32_e64 v24, 0, 1, s0
	v_cmp_gt_i32_e64 s0, 1, v9
	s_delay_alu instid0(VALU_DEP_2) | instskip(SKIP_2) | instid1(VALU_DEP_1)
	v_or_b32_e32 v10, v10, v24
	v_lshl_or_b32 v24, v9, 12, v2
	s_wait_alu 0xf1ff
	v_cndmask_b32_e64 v10, v24, v10, s0
	v_and_b32_e32 v24, 7, v23
	s_delay_alu instid0(VALU_DEP_2) | instskip(NEXT) | instid1(VALU_DEP_2)
	v_and_b32_e32 v6, 7, v10
	v_cmp_lt_i32_e64 s0, 5, v24
	v_cmp_eq_u32_e64 s2, 3, v24
	v_lshrrev_b32_e32 v10, 2, v10
	s_delay_alu instid0(VALU_DEP_4) | instskip(SKIP_4) | instid1(VALU_DEP_3)
	v_cmp_lt_i32_e64 s4, 5, v6
	v_cmp_eq_u32_e64 s5, 3, v6
	v_lshrrev_b32_e32 v6, 2, v23
	s_or_b32 s0, s2, s0
	v_cndmask_b32_e64 v23, 0, 1, s3
	s_or_b32 s2, s5, s4
	s_wait_alu 0xfffe
	v_add_co_ci_u32_e64 v6, s0, 0, v6, s0
	v_cmp_gt_i32_e64 s0, 31, v14
	v_lshl_or_b32 v23, v23, 9, 0x7c00
	v_add_co_ci_u32_e64 v10, s2, 0, v10, s2
	v_cmp_gt_i32_e64 s2, 31, v9
	s_wait_alu 0xf1ff
	v_cndmask_b32_e64 v6, 0x7c00, v6, s0
	v_cmp_eq_u32_e64 s0, 0x40f, v14
	v_cmp_gt_i32_e64 s4, 1, v7
	v_cndmask_b32_e64 v10, 0x7c00, v10, s2
	s_wait_alu 0xf1ff
	s_delay_alu instid0(VALU_DEP_3) | instskip(SKIP_3) | instid1(VALU_DEP_2)
	v_cndmask_b32_e64 v6, v6, v23, s0
	v_cmp_ne_u32_e64 s0, 0, v2
	v_lshrrev_b32_e32 v2, 16, v15
	s_wait_alu 0xf1ff
	v_cndmask_b32_e64 v14, 0, 1, s0
	v_cmp_eq_u32_e64 s0, 0x40f, v9
	s_delay_alu instid0(VALU_DEP_3) | instskip(NEXT) | instid1(VALU_DEP_3)
	v_and_or_b32 v2, 0x8000, v2, v6
	v_lshl_or_b32 v14, v14, 9, 0x7c00
	s_delay_alu instid0(VALU_DEP_2) | instskip(SKIP_1) | instid1(VALU_DEP_2)
	v_and_b32_e32 v2, 0xffff, v2
	s_wait_alu 0xf1ff
	v_cndmask_b32_e64 v9, v10, v14, s0
	ds_load_2addr_b32 v[14:15], v198 offset0:60 offset1:150
	v_and_or_b32 v3, 0x8000, v3, v9
	v_add_co_u32 v9, s0, v16, s8
	s_wait_alu 0xf1ff
	v_add_co_ci_u32_e64 v10, s0, s9, v17, s0
	s_delay_alu instid0(VALU_DEP_3)
	v_lshl_or_b32 v2, v3, 16, v2
	global_store_b32 v[16:17], v2, off
	scratch_load_b32 v17, off, off offset:156 th:TH_LOAD_LU ; 4-byte Folded Reload
	s_wait_dscnt 0x0
	v_lshrrev_b32_e32 v23, 16, v14
	v_mul_f16_e32 v2, v28, v14
	s_delay_alu instid0(VALU_DEP_1) | instskip(NEXT) | instid1(VALU_DEP_1)
	v_fma_f16 v2, v29, v23, -v2
	v_cvt_f32_f16_e32 v2, v2
	s_delay_alu instid0(VALU_DEP_1) | instskip(NEXT) | instid1(VALU_DEP_1)
	v_cvt_f64_f32_e32 v[2:3], v2
	v_mul_f64_e32 v[2:3], s[10:11], v[2:3]
	s_delay_alu instid0(VALU_DEP_1) | instskip(SKIP_3) | instid1(VALU_DEP_4)
	v_and_or_b32 v2, 0x1ff, v3, v2
	v_lshrrev_b32_e32 v6, 8, v3
	v_bfe_u32 v24, v3, 20, 11
	v_lshrrev_b32_e32 v3, 16, v3
	v_cmp_ne_u32_e64 s0, 0, v2
	s_wait_alu 0xf1ff
	s_delay_alu instid0(VALU_DEP_1) | instskip(NEXT) | instid1(VALU_DEP_1)
	v_cndmask_b32_e64 v2, 0, 1, s0
	v_and_or_b32 v2, 0xffe, v6, v2
	v_sub_nc_u32_e32 v6, 0x3f1, v24
	s_delay_alu instid0(VALU_DEP_2) | instskip(NEXT) | instid1(VALU_DEP_2)
	v_or_b32_e32 v16, 0x1000, v2
	v_med3_i32 v6, v6, 0, 13
	s_delay_alu instid0(VALU_DEP_1) | instskip(NEXT) | instid1(VALU_DEP_1)
	v_lshrrev_b32_e32 v25, v6, v16
	v_lshlrev_b32_e32 v6, v6, v25
	s_delay_alu instid0(VALU_DEP_1) | instskip(SKIP_2) | instid1(VALU_DEP_1)
	v_cmp_ne_u32_e64 s0, v6, v16
	v_lshrrev_b32_e32 v16, 16, v19
	s_wait_loadcnt 0x0
	v_mul_f16_e32 v6, v17, v16
	v_mul_f16_e32 v17, v17, v19
	s_delay_alu instid0(VALU_DEP_2) | instskip(NEXT) | instid1(VALU_DEP_2)
	v_fmac_f16_e32 v6, v18, v19
	v_fma_f16 v18, v18, v16, -v17
	v_cvt_f32_f16_e32 v16, v20
	s_delay_alu instid0(VALU_DEP_1) | instskip(NEXT) | instid1(VALU_DEP_1)
	v_cvt_f64_f32_e32 v[16:17], v16
	v_mul_f64_e32 v[16:17], s[10:11], v[16:17]
	s_delay_alu instid0(VALU_DEP_1) | instskip(SKIP_1) | instid1(VALU_DEP_2)
	v_and_or_b32 v16, 0x1ff, v17, v16
	v_lshrrev_b32_e32 v19, 8, v17
	v_cmp_ne_u32_e64 s2, 0, v16
	s_wait_alu 0xf1ff
	s_delay_alu instid0(VALU_DEP_1) | instskip(NEXT) | instid1(VALU_DEP_1)
	v_cndmask_b32_e64 v16, 0, 1, s2
	v_and_or_b32 v16, 0xffe, v19, v16
	v_bfe_u32 v19, v17, 20, 11
	v_lshrrev_b32_e32 v17, 16, v17
	s_delay_alu instid0(VALU_DEP_3) | instskip(NEXT) | instid1(VALU_DEP_3)
	v_or_b32_e32 v26, 0x1000, v16
	v_sub_nc_u32_e32 v20, 0x3f1, v19
	v_add_nc_u32_e32 v19, 0xfffffc10, v19
	s_delay_alu instid0(VALU_DEP_2) | instskip(NEXT) | instid1(VALU_DEP_1)
	v_med3_i32 v20, v20, 0, 13
	v_lshrrev_b32_e32 v27, v20, v26
	s_delay_alu instid0(VALU_DEP_1) | instskip(NEXT) | instid1(VALU_DEP_1)
	v_lshlrev_b32_e32 v20, v20, v27
	v_cmp_ne_u32_e64 s2, v20, v26
	v_lshl_or_b32 v26, v19, 12, v16
	s_wait_alu 0xf1ff
	s_delay_alu instid0(VALU_DEP_2) | instskip(SKIP_1) | instid1(VALU_DEP_2)
	v_cndmask_b32_e64 v20, 0, 1, s2
	v_cmp_gt_i32_e64 s2, 1, v19
	v_or_b32_e32 v20, v27, v20
	scratch_load_b32 v27, off, off offset:132 th:TH_LOAD_LU ; 4-byte Folded Reload
	s_wait_alu 0xf1ff
	v_cndmask_b32_e64 v20, v26, v20, s2
	s_delay_alu instid0(VALU_DEP_1) | instskip(NEXT) | instid1(VALU_DEP_1)
	v_and_b32_e32 v26, 7, v20
	v_cmp_lt_i32_e64 s2, 5, v26
	v_cmp_eq_u32_e64 s3, 3, v26
	s_wait_alu 0xfffd
	v_cndmask_b32_e64 v26, 0, 1, vcc_lo
	v_cmp_ne_u32_e32 vcc_lo, 0, v16
	v_lshl_or_b32 v16, v7, 12, v0
	s_or_b32 s2, s3, s2
	s_delay_alu instid0(VALU_DEP_3)
	v_or_b32_e32 v8, v8, v26
	scratch_load_b32 v26, off, off offset:128 th:TH_LOAD_LU ; 4-byte Folded Reload
	v_cmp_ne_u32_e64 s3, 0, v0
	v_cndmask_b32_e64 v8, v16, v8, s4
	v_lshrrev_b32_e32 v16, 2, v20
	s_wait_alu 0xfffd
	v_cndmask_b32_e64 v20, 0, 1, vcc_lo
	v_cmp_eq_u32_e32 vcc_lo, 0x40f, v19
	v_lshrrev_b32_e32 v0, 2, v8
	s_wait_alu 0xfffe
	v_add_co_ci_u32_e64 v16, s2, 0, v16, s2
	v_cmp_gt_i32_e64 s2, 31, v19
	v_lshl_or_b32 v20, v20, 9, 0x7c00
	v_and_b32_e32 v19, 7, v8
	s_wait_alu 0xf1ff
	v_cndmask_b32_e64 v8, 0, 1, s3
	v_cndmask_b32_e64 v16, 0x7c00, v16, s2
	s_delay_alu instid0(VALU_DEP_3) | instskip(NEXT) | instid1(VALU_DEP_3)
	v_cmp_eq_u32_e64 s2, 3, v19
	v_lshl_or_b32 v8, v8, 9, 0x7c00
	s_wait_alu 0xfffd
	s_delay_alu instid0(VALU_DEP_3)
	v_cndmask_b32_e32 v16, v16, v20, vcc_lo
	v_cmp_lt_i32_e32 vcc_lo, 5, v19
	s_or_b32 vcc_lo, s2, vcc_lo
	s_wait_alu 0xfffe
	v_add_co_ci_u32_e32 v0, vcc_lo, 0, v0, vcc_lo
	v_cmp_gt_i32_e32 vcc_lo, 31, v7
	s_wait_alu 0xfffd
	s_delay_alu instid0(VALU_DEP_2) | instskip(SKIP_3) | instid1(VALU_DEP_3)
	v_cndmask_b32_e32 v0, 0x7c00, v0, vcc_lo
	v_cmp_eq_u32_e32 vcc_lo, 0x40f, v7
	v_and_or_b32 v7, 0x8000, v17, v16
	s_wait_alu 0xfffd
	v_cndmask_b32_e32 v0, v0, v8, vcc_lo
	s_delay_alu instid0(VALU_DEP_1) | instskip(NEXT) | instid1(VALU_DEP_3)
	v_and_or_b32 v0, 0x8000, v1, v0
	v_and_b32_e32 v1, 0xffff, v7
	v_add_co_u32 v7, vcc_lo, v9, s14
	s_wait_alu 0xfffd
	v_add_co_ci_u32_e32 v8, vcc_lo, s15, v10, vcc_lo
	s_delay_alu instid0(VALU_DEP_3) | instskip(SKIP_2) | instid1(VALU_DEP_1)
	v_lshl_or_b32 v0, v0, 16, v1
	global_store_b32 v[9:10], v0, off
	v_cvt_f32_f16_e32 v0, v22
	v_cvt_f64_f32_e32 v[0:1], v0
	s_delay_alu instid0(VALU_DEP_1) | instskip(NEXT) | instid1(VALU_DEP_1)
	v_mul_f64_e32 v[0:1], s[10:11], v[0:1]
	v_and_or_b32 v0, 0x1ff, v1, v0
	v_lshrrev_b32_e32 v9, 8, v1
	v_bfe_u32 v16, v1, 20, 11
	v_lshrrev_b32_e32 v1, 16, v1
	s_delay_alu instid0(VALU_DEP_4) | instskip(SKIP_2) | instid1(VALU_DEP_1)
	v_cmp_ne_u32_e32 vcc_lo, 0, v0
	s_wait_alu 0xfffd
	v_cndmask_b32_e64 v0, 0, 1, vcc_lo
	v_and_or_b32 v0, 0xffe, v9, v0
	v_sub_nc_u32_e32 v9, 0x3f1, v16
	s_delay_alu instid0(VALU_DEP_2) | instskip(NEXT) | instid1(VALU_DEP_2)
	v_or_b32_e32 v10, 0x1000, v0
	v_med3_i32 v9, v9, 0, 13
	s_delay_alu instid0(VALU_DEP_1) | instskip(NEXT) | instid1(VALU_DEP_1)
	v_lshrrev_b32_e32 v17, v9, v10
	v_lshlrev_b32_e32 v9, v9, v17
	s_delay_alu instid0(VALU_DEP_1) | instskip(SKIP_1) | instid1(VALU_DEP_1)
	v_cmp_ne_u32_e32 vcc_lo, v9, v10
	v_cvt_f32_f16_e32 v9, v21
	v_cvt_f64_f32_e32 v[9:10], v9
	s_delay_alu instid0(VALU_DEP_1) | instskip(NEXT) | instid1(VALU_DEP_1)
	v_mul_f64_e32 v[9:10], s[10:11], v[9:10]
	v_and_or_b32 v9, 0x1ff, v10, v9
	v_lshrrev_b32_e32 v19, 8, v10
	s_delay_alu instid0(VALU_DEP_2) | instskip(SKIP_1) | instid1(VALU_DEP_1)
	v_cmp_ne_u32_e64 s2, 0, v9
	s_wait_alu 0xf1ff
	v_cndmask_b32_e64 v9, 0, 1, s2
	s_delay_alu instid0(VALU_DEP_1) | instskip(SKIP_2) | instid1(VALU_DEP_3)
	v_and_or_b32 v9, 0xffe, v19, v9
	v_bfe_u32 v19, v10, 20, 11
	v_lshrrev_b32_e32 v10, 16, v10
	v_or_b32_e32 v21, 0x1000, v9
	s_delay_alu instid0(VALU_DEP_3) | instskip(SKIP_2) | instid1(VALU_DEP_3)
	v_sub_nc_u32_e32 v20, 0x3f1, v19
	v_add_nc_u32_e32 v19, 0xfffffc10, v19
	v_cmp_ne_u32_e64 s3, 0, v9
	v_med3_i32 v20, v20, 0, 13
	s_delay_alu instid0(VALU_DEP_1) | instskip(NEXT) | instid1(VALU_DEP_1)
	v_lshrrev_b32_e32 v22, v20, v21
	v_lshlrev_b32_e32 v20, v20, v22
	s_delay_alu instid0(VALU_DEP_1) | instskip(SKIP_2) | instid1(VALU_DEP_2)
	v_cmp_ne_u32_e64 s2, v20, v21
	v_lshl_or_b32 v21, v19, 12, v9
	s_wait_alu 0xf1ff
	v_cndmask_b32_e64 v20, 0, 1, s2
	v_cmp_gt_i32_e64 s2, 1, v19
	s_delay_alu instid0(VALU_DEP_2) | instskip(SKIP_1) | instid1(VALU_DEP_1)
	v_or_b32_e32 v20, v22, v20
	s_wait_alu 0xf1ff
	v_cndmask_b32_e64 v20, v21, v20, s2
	v_cndmask_b32_e64 v21, 0, 1, s1
	v_cmp_gt_i32_e64 s1, 1, v12
	s_delay_alu instid0(VALU_DEP_2) | instskip(SKIP_2) | instid1(VALU_DEP_1)
	v_or_b32_e32 v13, v13, v21
	v_lshl_or_b32 v21, v12, 12, v11
	s_wait_alu 0xf1ff
	v_cndmask_b32_e64 v13, v21, v13, s1
	v_and_b32_e32 v21, 7, v20
	s_delay_alu instid0(VALU_DEP_2) | instskip(NEXT) | instid1(VALU_DEP_2)
	v_and_b32_e32 v9, 7, v13
	v_cmp_lt_i32_e64 s1, 5, v21
	v_cmp_eq_u32_e64 s2, 3, v21
	s_delay_alu instid0(VALU_DEP_3) | instskip(SKIP_2) | instid1(VALU_DEP_4)
	v_cmp_lt_i32_e64 s4, 5, v9
	v_cmp_eq_u32_e64 s5, 3, v9
	v_lshrrev_b32_e32 v9, 2, v20
	s_or_b32 s1, s2, s1
	v_cndmask_b32_e64 v20, 0, 1, s3
	s_delay_alu instid0(VALU_DEP_3)
	s_or_b32 s2, s5, s4
	s_wait_alu 0xfffe
	v_add_co_ci_u32_e64 v9, s1, 0, v9, s1
	v_cmp_gt_i32_e64 s1, 31, v19
	v_lshl_or_b32 v20, v20, 9, 0x7c00
	s_wait_alu 0xf1ff
	s_delay_alu instid0(VALU_DEP_2) | instskip(SKIP_2) | instid1(VALU_DEP_1)
	v_cndmask_b32_e64 v9, 0x7c00, v9, s1
	v_cmp_eq_u32_e64 s1, 0x40f, v19
	s_wait_alu 0xf1ff
	v_cndmask_b32_e64 v9, v9, v20, s1
	v_cmp_ne_u32_e64 s1, 0, v11
	v_lshrrev_b32_e32 v11, 2, v13
	s_delay_alu instid0(VALU_DEP_3) | instskip(SKIP_1) | instid1(VALU_DEP_3)
	v_and_or_b32 v9, 0x8000, v10, v9
	s_wait_alu 0xf1ff
	v_cndmask_b32_e64 v13, 0, 1, s1
	s_delay_alu instid0(VALU_DEP_3) | instskip(SKIP_2) | instid1(VALU_DEP_4)
	v_add_co_ci_u32_e64 v11, s2, 0, v11, s2
	v_cmp_gt_i32_e64 s2, 31, v12
	v_cmp_eq_u32_e64 s1, 0x40f, v12
	v_lshl_or_b32 v13, v13, 9, 0x7c00
	scratch_load_b32 v12, off, off offset:144 th:TH_LOAD_LU ; 4-byte Folded Reload
	v_and_b32_e32 v9, 0xffff, v9
	s_wait_alu 0xf1ff
	v_cndmask_b32_e64 v11, 0x7c00, v11, s2
	v_lshrrev_b32_e32 v10, 16, v15
	s_delay_alu instid0(VALU_DEP_2) | instskip(NEXT) | instid1(VALU_DEP_1)
	v_cndmask_b32_e64 v11, v11, v13, s1
	v_and_or_b32 v5, 0x8000, v5, v11
	scratch_load_b32 v11, off, off offset:148 th:TH_LOAD_LU ; 4-byte Folded Reload
	v_lshl_or_b32 v5, v5, 16, v9
	v_mul_f16_e32 v9, v28, v23
	scratch_load_b32 v28, off, off offset:136 th:TH_LOAD_LU ; 4-byte Folded Reload
	global_store_b32 v[7:8], v5, off
	v_fmac_f16_e32 v9, v29, v14
	scratch_load_b32 v29, off, off offset:140 th:TH_LOAD_LU ; 4-byte Folded Reload
	v_add_co_u32 v7, s1, v7, s14
	s_wait_alu 0xf1ff
	v_add_co_ci_u32_e64 v8, s1, s15, v8, s1
	v_cvt_f32_f16_e32 v9, v9
	s_wait_loadcnt 0x2
	v_mul_f16_e32 v5, v11, v10
	v_mul_f16_e32 v11, v11, v15
	s_delay_alu instid0(VALU_DEP_2) | instskip(NEXT) | instid1(VALU_DEP_2)
	v_fmac_f16_e32 v5, v12, v15
	v_fma_f16 v11, v12, v10, -v11
	v_cvt_f64_f32_e32 v[9:10], v9
	s_delay_alu instid0(VALU_DEP_1) | instskip(NEXT) | instid1(VALU_DEP_1)
	v_mul_f64_e32 v[9:10], s[10:11], v[9:10]
	v_and_or_b32 v9, 0x1ff, v10, v9
	v_lshrrev_b32_e32 v12, 8, v10
	s_delay_alu instid0(VALU_DEP_2) | instskip(SKIP_1) | instid1(VALU_DEP_1)
	v_cmp_ne_u32_e64 s1, 0, v9
	s_wait_alu 0xf1ff
	v_cndmask_b32_e64 v9, 0, 1, s1
	s_delay_alu instid0(VALU_DEP_1) | instskip(SKIP_1) | instid1(VALU_DEP_2)
	v_and_or_b32 v9, 0xffe, v12, v9
	v_bfe_u32 v12, v10, 20, 11
	v_or_b32_e32 v14, 0x1000, v9
	s_delay_alu instid0(VALU_DEP_2) | instskip(SKIP_2) | instid1(VALU_DEP_3)
	v_sub_nc_u32_e32 v13, 0x3f1, v12
	v_add_nc_u32_e32 v12, 0xfffffc10, v12
	v_cmp_ne_u32_e64 s2, 0, v9
	v_med3_i32 v13, v13, 0, 13
	s_delay_alu instid0(VALU_DEP_1) | instskip(NEXT) | instid1(VALU_DEP_1)
	v_lshrrev_b32_e32 v15, v13, v14
	v_lshlrev_b32_e32 v13, v13, v15
	s_delay_alu instid0(VALU_DEP_1) | instskip(SKIP_2) | instid1(VALU_DEP_2)
	v_cmp_ne_u32_e64 s1, v13, v14
	v_lshl_or_b32 v14, v12, 12, v9
	s_wait_alu 0xf1ff
	v_cndmask_b32_e64 v13, 0, 1, s1
	v_cmp_gt_i32_e64 s1, 1, v12
	s_delay_alu instid0(VALU_DEP_2) | instskip(SKIP_2) | instid1(VALU_DEP_2)
	v_or_b32_e32 v13, v15, v13
	v_add_nc_u32_e32 v15, 0xfffffc10, v24
	s_wait_alu 0xf1ff
	v_cndmask_b32_e64 v13, v14, v13, s1
	v_cndmask_b32_e64 v14, 0, 1, s0
	s_delay_alu instid0(VALU_DEP_3) | instskip(SKIP_1) | instid1(VALU_DEP_3)
	v_lshl_or_b32 v19, v15, 12, v2
	v_cmp_gt_i32_e64 s0, 1, v15
	v_or_b32_e32 v14, v25, v14
	s_wait_alu 0xf1ff
	s_delay_alu instid0(VALU_DEP_1) | instskip(SKIP_1) | instid1(VALU_DEP_2)
	v_cndmask_b32_e64 v14, v19, v14, s0
	v_and_b32_e32 v19, 7, v13
	v_and_b32_e32 v9, 7, v14
	s_delay_alu instid0(VALU_DEP_2) | instskip(SKIP_1) | instid1(VALU_DEP_3)
	v_cmp_lt_i32_e64 s0, 5, v19
	v_cmp_eq_u32_e64 s1, 3, v19
	v_cmp_lt_i32_e64 s3, 5, v9
	v_cmp_eq_u32_e64 s4, 3, v9
	v_lshrrev_b32_e32 v9, 2, v13
	s_delay_alu instid0(VALU_DEP_4) | instskip(SKIP_1) | instid1(VALU_DEP_3)
	s_or_b32 s0, s1, s0
	v_cndmask_b32_e64 v13, 0, 1, s2
	s_or_b32 s1, s4, s3
	s_wait_alu 0xfffe
	v_add_co_ci_u32_e64 v9, s0, 0, v9, s0
	v_cmp_gt_i32_e64 s0, 31, v12
	v_lshl_or_b32 v13, v13, 9, 0x7c00
	s_wait_alu 0xf1ff
	s_delay_alu instid0(VALU_DEP_2) | instskip(SKIP_2) | instid1(VALU_DEP_1)
	v_cndmask_b32_e64 v9, 0x7c00, v9, s0
	v_cmp_eq_u32_e64 s0, 0x40f, v12
	s_wait_alu 0xf1ff
	v_cndmask_b32_e64 v9, v9, v13, s0
	v_cmp_ne_u32_e64 s0, 0, v2
	v_lshrrev_b32_e32 v2, 16, v10
	v_lshrrev_b32_e32 v10, 2, v14
	s_wait_alu 0xf1ff
	s_delay_alu instid0(VALU_DEP_3) | instskip(SKIP_1) | instid1(VALU_DEP_3)
	v_cndmask_b32_e64 v12, 0, 1, s0
	v_cmp_eq_u32_e64 s0, 0x40f, v15
	v_add_co_ci_u32_e64 v10, s1, 0, v10, s1
	v_cmp_gt_i32_e64 s1, 31, v15
	s_delay_alu instid0(VALU_DEP_4) | instskip(SKIP_2) | instid1(VALU_DEP_3)
	v_lshl_or_b32 v12, v12, 9, 0x7c00
	v_and_or_b32 v2, 0x8000, v2, v9
	s_wait_alu 0xf1ff
	v_cndmask_b32_e64 v10, 0x7c00, v10, s1
	s_delay_alu instid0(VALU_DEP_2) | instskip(NEXT) | instid1(VALU_DEP_2)
	v_and_b32_e32 v2, 0xffff, v2
	v_cndmask_b32_e64 v10, v10, v12, s0
	s_delay_alu instid0(VALU_DEP_1) | instskip(NEXT) | instid1(VALU_DEP_1)
	v_and_or_b32 v3, 0x8000, v3, v10
	v_lshl_or_b32 v2, v3, 16, v2
	global_store_b32 v[7:8], v2, off
	v_add_co_u32 v2, s0, v7, s8
	v_cvt_f32_f16_e32 v7, v18
	s_wait_alu 0xf1ff
	v_add_co_ci_u32_e64 v3, s0, s9, v8, s0
	s_delay_alu instid0(VALU_DEP_2) | instskip(NEXT) | instid1(VALU_DEP_1)
	v_cvt_f64_f32_e32 v[7:8], v7
	v_mul_f64_e32 v[7:8], s[10:11], v[7:8]
	s_delay_alu instid0(VALU_DEP_1) | instskip(SKIP_2) | instid1(VALU_DEP_3)
	v_and_or_b32 v7, 0x1ff, v8, v7
	v_lshrrev_b32_e32 v9, 8, v8
	v_bfe_u32 v18, v8, 20, 11
	v_cmp_ne_u32_e64 s0, 0, v7
	s_wait_alu 0xf1ff
	s_delay_alu instid0(VALU_DEP_1) | instskip(NEXT) | instid1(VALU_DEP_1)
	v_cndmask_b32_e64 v7, 0, 1, s0
	v_and_or_b32 v7, 0xffe, v9, v7
	v_sub_nc_u32_e32 v9, 0x3f1, v18
	s_delay_alu instid0(VALU_DEP_2) | instskip(NEXT) | instid1(VALU_DEP_2)
	v_or_b32_e32 v10, 0x1000, v7
	v_med3_i32 v9, v9, 0, 13
	s_delay_alu instid0(VALU_DEP_1) | instskip(NEXT) | instid1(VALU_DEP_1)
	v_lshrrev_b32_e32 v19, v9, v10
	v_lshlrev_b32_e32 v9, v9, v19
	s_delay_alu instid0(VALU_DEP_1) | instskip(SKIP_1) | instid1(VALU_DEP_1)
	v_cmp_ne_u32_e64 s1, v9, v10
	v_cvt_f64_f32_e32 v[9:10], v4
	v_mul_f64_e32 v[9:10], s[10:11], v[9:10]
	s_delay_alu instid0(VALU_DEP_1) | instskip(SKIP_1) | instid1(VALU_DEP_2)
	v_and_or_b32 v4, 0x1ff, v10, v9
	v_lshrrev_b32_e32 v9, 8, v10
	v_cmp_ne_u32_e64 s0, 0, v4
	s_wait_alu 0xf1ff
	s_delay_alu instid0(VALU_DEP_1) | instskip(NEXT) | instid1(VALU_DEP_1)
	v_cndmask_b32_e64 v4, 0, 1, s0
	v_and_or_b32 v4, 0xffe, v9, v4
	v_bfe_u32 v9, v10, 20, 11
	s_delay_alu instid0(VALU_DEP_2) | instskip(NEXT) | instid1(VALU_DEP_2)
	v_or_b32_e32 v13, 0x1000, v4
	v_sub_nc_u32_e32 v12, 0x3f1, v9
	v_add_nc_u32_e32 v9, 0xfffffc10, v9
	s_delay_alu instid0(VALU_DEP_2) | instskip(NEXT) | instid1(VALU_DEP_1)
	v_med3_i32 v12, v12, 0, 13
	v_lshrrev_b32_e32 v14, v12, v13
	s_delay_alu instid0(VALU_DEP_1) | instskip(NEXT) | instid1(VALU_DEP_1)
	v_lshlrev_b32_e32 v12, v12, v14
	v_cmp_ne_u32_e64 s0, v12, v13
	v_lshl_or_b32 v13, v9, 12, v4
	s_wait_alu 0xf1ff
	s_delay_alu instid0(VALU_DEP_2) | instskip(SKIP_1) | instid1(VALU_DEP_2)
	v_cndmask_b32_e64 v12, 0, 1, s0
	v_cmp_gt_i32_e64 s0, 1, v9
	v_or_b32_e32 v12, v14, v12
	s_wait_alu 0xf1ff
	s_delay_alu instid0(VALU_DEP_1) | instskip(NEXT) | instid1(VALU_DEP_1)
	v_cndmask_b32_e64 v12, v13, v12, s0
	v_and_b32_e32 v13, 7, v12
	v_lshrrev_b32_e32 v12, 2, v12
	s_delay_alu instid0(VALU_DEP_2)
	v_cmp_lt_i32_e64 s0, 5, v13
	v_cmp_eq_u32_e64 s2, 3, v13
	s_wait_alu 0xfffd
	v_cndmask_b32_e64 v13, 0, 1, vcc_lo
	v_cmp_ne_u32_e32 vcc_lo, 0, v4
	v_add_nc_u32_e32 v4, 0xfffffc10, v16
	s_or_b32 s0, s2, s0
	s_delay_alu instid0(VALU_DEP_3)
	v_or_b32_e32 v13, v17, v13
	s_wait_alu 0xfffe
	v_add_co_ci_u32_e64 v12, s0, 0, v12, s0
	v_lshl_or_b32 v14, v4, 12, v0
	v_cmp_gt_i32_e64 s3, 1, v4
	v_cmp_gt_i32_e64 s0, 31, v9
	v_cmp_ne_u32_e64 s2, 0, v0
	v_lshrrev_b32_e32 v0, 16, v10
	s_wait_alu 0xf1ff
	v_cndmask_b32_e64 v13, v14, v13, s3
	s_wait_alu 0xfffd
	v_cndmask_b32_e64 v14, 0, 1, vcc_lo
	v_cndmask_b32_e64 v12, 0x7c00, v12, s0
	v_cmp_eq_u32_e32 vcc_lo, 0x40f, v9
	v_lshrrev_b32_e32 v10, 2, v13
	s_delay_alu instid0(VALU_DEP_4) | instskip(SKIP_1) | instid1(VALU_DEP_1)
	v_lshl_or_b32 v14, v14, 9, 0x7c00
	s_wait_alu 0xfffd
	v_dual_cndmask_b32 v9, v12, v14 :: v_dual_and_b32 v12, 7, v13
	s_delay_alu instid0(VALU_DEP_1) | instskip(NEXT) | instid1(VALU_DEP_2)
	v_and_or_b32 v0, 0x8000, v0, v9
	v_cmp_lt_i32_e32 vcc_lo, 5, v12
	v_cmp_eq_u32_e64 s0, 3, v12
	v_cndmask_b32_e64 v12, 0, 1, s2
	s_delay_alu instid0(VALU_DEP_4) | instskip(NEXT) | instid1(VALU_DEP_3)
	v_and_b32_e32 v0, 0xffff, v0
	s_or_b32 vcc_lo, s0, vcc_lo
	s_delay_alu instid0(VALU_DEP_2) | instskip(SKIP_4) | instid1(VALU_DEP_2)
	v_lshl_or_b32 v12, v12, 9, 0x7c00
	s_wait_alu 0xfffe
	v_add_co_ci_u32_e32 v10, vcc_lo, 0, v10, vcc_lo
	v_cmp_gt_i32_e32 vcc_lo, 31, v4
	s_wait_alu 0xfffd
	v_cndmask_b32_e32 v10, 0x7c00, v10, vcc_lo
	v_cmp_eq_u32_e32 vcc_lo, 0x40f, v4
	s_wait_alu 0xfffd
	s_delay_alu instid0(VALU_DEP_2) | instskip(SKIP_3) | instid1(VALU_DEP_3)
	v_cndmask_b32_e32 v4, v10, v12, vcc_lo
	v_add_co_u32 v12, vcc_lo, v2, s14
	s_wait_alu 0xfffd
	v_add_co_ci_u32_e32 v13, vcc_lo, s15, v3, vcc_lo
	v_and_or_b32 v1, 0x8000, v1, v4
	s_delay_alu instid0(VALU_DEP_1)
	v_lshl_or_b32 v0, v1, 16, v0
	global_store_b32 v[2:3], v0, off
	v_cvt_f32_f16_e32 v0, v11
	ds_load_2addr_b32 v[3:4], v237 offset0:104 offset1:194
	v_cvt_f64_f32_e32 v[0:1], v0
	s_wait_dscnt 0x0
	v_lshrrev_b32_e32 v22, 16, v3
	s_delay_alu instid0(VALU_DEP_2) | instskip(NEXT) | instid1(VALU_DEP_1)
	v_mul_f64_e32 v[14:15], s[10:11], v[0:1]
	v_and_or_b32 v0, 0x1ff, v15, v14
	v_lshrrev_b32_e32 v1, 8, v15
	v_bfe_u32 v20, v15, 20, 11
	s_delay_alu instid0(VALU_DEP_3) | instskip(SKIP_2) | instid1(VALU_DEP_1)
	v_cmp_ne_u32_e32 vcc_lo, 0, v0
	s_wait_alu 0xfffd
	v_cndmask_b32_e64 v0, 0, 1, vcc_lo
	v_and_or_b32 v14, 0xffe, v1, v0
	v_sub_nc_u32_e32 v0, 0x3f1, v20
	v_add_nc_u32_e32 v20, 0xfffffc10, v20
	s_delay_alu instid0(VALU_DEP_3) | instskip(NEXT) | instid1(VALU_DEP_3)
	v_or_b32_e32 v1, 0x1000, v14
	v_med3_i32 v0, v0, 0, 13
	s_delay_alu instid0(VALU_DEP_1) | instskip(NEXT) | instid1(VALU_DEP_1)
	v_lshrrev_b32_e32 v21, v0, v1
	v_lshlrev_b32_e32 v0, v0, v21
	s_delay_alu instid0(VALU_DEP_1) | instskip(SKIP_2) | instid1(VALU_DEP_1)
	v_cmp_ne_u32_e64 s2, v0, v1
	s_wait_loadcnt 0x0
	v_mul_f16_e32 v0, v29, v3
	v_fma_f16 v0, v28, v22, -v0
	s_delay_alu instid0(VALU_DEP_1) | instskip(NEXT) | instid1(VALU_DEP_1)
	v_cvt_f32_f16_e32 v0, v0
	v_cvt_f64_f32_e32 v[0:1], v0
	s_delay_alu instid0(VALU_DEP_1) | instskip(NEXT) | instid1(VALU_DEP_1)
	v_mul_f64_e32 v[1:2], s[10:11], v[0:1]
	v_and_or_b32 v0, 0x1ff, v2, v1
	v_lshrrev_b32_e32 v1, 8, v2
	v_bfe_u32 v10, v2, 20, 11
	v_lshrrev_b32_e32 v2, 16, v2
	s_delay_alu instid0(VALU_DEP_4) | instskip(SKIP_2) | instid1(VALU_DEP_1)
	v_cmp_ne_u32_e32 vcc_lo, 0, v0
	s_wait_alu 0xfffd
	v_cndmask_b32_e64 v0, 0, 1, vcc_lo
	v_and_or_b32 v9, 0xffe, v1, v0
	v_sub_nc_u32_e32 v0, 0x3f1, v10
	s_delay_alu instid0(VALU_DEP_2) | instskip(NEXT) | instid1(VALU_DEP_2)
	v_or_b32_e32 v1, 0x1000, v9
	v_med3_i32 v0, v0, 0, 13
	s_delay_alu instid0(VALU_DEP_1) | instskip(NEXT) | instid1(VALU_DEP_1)
	v_lshrrev_b32_e32 v11, v0, v1
	v_lshlrev_b32_e32 v0, v0, v11
	s_delay_alu instid0(VALU_DEP_1) | instskip(SKIP_1) | instid1(VALU_DEP_1)
	v_cmp_ne_u32_e64 s0, v0, v1
	v_cvt_f32_f16_e32 v0, v6
	v_cvt_f64_f32_e32 v[0:1], v0
	s_delay_alu instid0(VALU_DEP_1) | instskip(NEXT) | instid1(VALU_DEP_1)
	v_mul_f64_e32 v[0:1], s[10:11], v[0:1]
	v_and_or_b32 v0, 0x1ff, v1, v0
	v_lshrrev_b32_e32 v6, 8, v1
	s_delay_alu instid0(VALU_DEP_2) | instskip(SKIP_2) | instid1(VALU_DEP_1)
	v_cmp_ne_u32_e32 vcc_lo, 0, v0
	s_wait_alu 0xfffd
	v_cndmask_b32_e64 v0, 0, 1, vcc_lo
	v_and_or_b32 v0, 0xffe, v6, v0
	v_bfe_u32 v6, v1, 20, 11
	v_lshrrev_b32_e32 v1, 16, v1
	s_delay_alu instid0(VALU_DEP_3) | instskip(NEXT) | instid1(VALU_DEP_3)
	v_or_b32_e32 v17, 0x1000, v0
	v_sub_nc_u32_e32 v16, 0x3f1, v6
	v_add_nc_u32_e32 v6, 0xfffffc10, v6
	v_cmp_ne_u32_e64 s4, 0, v0
	s_delay_alu instid0(VALU_DEP_3) | instskip(NEXT) | instid1(VALU_DEP_1)
	v_med3_i32 v16, v16, 0, 13
	v_lshrrev_b32_e32 v23, v16, v17
	s_delay_alu instid0(VALU_DEP_1) | instskip(NEXT) | instid1(VALU_DEP_1)
	v_lshlrev_b32_e32 v16, v16, v23
	v_cmp_ne_u32_e32 vcc_lo, v16, v17
	v_lshl_or_b32 v17, v6, 12, v0
	v_cndmask_b32_e64 v0, 0, 1, s1
	s_wait_alu 0xfffd
	v_cndmask_b32_e64 v16, 0, 1, vcc_lo
	v_cmp_gt_i32_e32 vcc_lo, 1, v6
	s_delay_alu instid0(VALU_DEP_3) | instskip(NEXT) | instid1(VALU_DEP_3)
	v_or_b32_e32 v0, v19, v0
	v_or_b32_e32 v16, v23, v16
	s_wait_alu 0xfffd
	s_delay_alu instid0(VALU_DEP_1) | instskip(NEXT) | instid1(VALU_DEP_1)
	v_cndmask_b32_e32 v16, v17, v16, vcc_lo
	v_and_b32_e32 v17, 7, v16
	v_lshrrev_b32_e32 v16, 2, v16
	s_delay_alu instid0(VALU_DEP_2) | instskip(SKIP_2) | instid1(VALU_DEP_2)
	v_cmp_lt_i32_e32 vcc_lo, 5, v17
	v_cmp_eq_u32_e64 s3, 3, v17
	v_add_nc_u32_e32 v17, 0xfffffc10, v18
	s_or_b32 vcc_lo, s3, vcc_lo
	s_delay_alu instid0(VALU_DEP_1)
	v_lshl_or_b32 v18, v17, 12, v7
	v_cmp_gt_i32_e64 s1, 1, v17
	s_wait_alu 0xfffe
	v_add_co_ci_u32_e32 v16, vcc_lo, 0, v16, vcc_lo
	v_cmp_gt_i32_e32 vcc_lo, 31, v6
	v_cmp_ne_u32_e64 s3, 0, v7
	s_wait_alu 0xf1ff
	v_cndmask_b32_e64 v0, v18, v0, s1
	v_cndmask_b32_e64 v18, 0, 1, s4
	s_wait_alu 0xfffd
	v_cndmask_b32_e32 v16, 0x7c00, v16, vcc_lo
	v_cmp_eq_u32_e32 vcc_lo, 0x40f, v6
	v_cndmask_b32_e64 v7, 0, 1, s3
	v_lshl_or_b32 v18, v18, 9, 0x7c00
	s_delay_alu instid0(VALU_DEP_2) | instskip(SKIP_1) | instid1(VALU_DEP_2)
	v_lshl_or_b32 v7, v7, 9, 0x7c00
	s_wait_alu 0xfffd
	v_cndmask_b32_e32 v6, v16, v18, vcc_lo
	v_and_b32_e32 v16, 7, v0
	v_lshrrev_b32_e32 v0, 2, v0
	s_delay_alu instid0(VALU_DEP_3) | instskip(NEXT) | instid1(VALU_DEP_3)
	v_and_or_b32 v1, 0x8000, v1, v6
	v_cmp_lt_i32_e32 vcc_lo, 5, v16
	v_cmp_eq_u32_e64 s1, 3, v16
	s_delay_alu instid0(VALU_DEP_3) | instskip(NEXT) | instid1(VALU_DEP_2)
	v_and_b32_e32 v1, 0xffff, v1
	s_or_b32 vcc_lo, s1, vcc_lo
	s_wait_alu 0xfffe
	v_add_co_ci_u32_e32 v0, vcc_lo, 0, v0, vcc_lo
	v_cmp_gt_i32_e32 vcc_lo, 31, v17
	s_wait_alu 0xfffd
	s_delay_alu instid0(VALU_DEP_2)
	v_cndmask_b32_e32 v0, 0x7c00, v0, vcc_lo
	v_cmp_eq_u32_e32 vcc_lo, 0x40f, v17
	ds_load_2addr_b32 v[16:17], v181 offset0:108 offset1:198
	s_wait_alu 0xfffd
	v_cndmask_b32_e32 v0, v0, v7, vcc_lo
	v_lshrrev_b32_e32 v7, 16, v8
	s_delay_alu instid0(VALU_DEP_1) | instskip(NEXT) | instid1(VALU_DEP_1)
	v_and_or_b32 v0, 0x8000, v7, v0
	v_lshl_or_b32 v0, v0, 16, v1
	global_store_b32 v[12:13], v0, off
	s_wait_dscnt 0x0
	v_lshrrev_b32_e32 v23, 16, v16
	v_mul_f16_e32 v0, v27, v16
	v_add_co_u32 v12, vcc_lo, v12, s14
	s_wait_alu 0xfffd
	v_add_co_ci_u32_e32 v13, vcc_lo, s15, v13, vcc_lo
	s_delay_alu instid0(VALU_DEP_3) | instskip(NEXT) | instid1(VALU_DEP_1)
	v_fma_f16 v0, v26, v23, -v0
	v_cvt_f32_f16_e32 v0, v0
	s_delay_alu instid0(VALU_DEP_1) | instskip(NEXT) | instid1(VALU_DEP_1)
	v_cvt_f64_f32_e32 v[0:1], v0
	v_mul_f64_e32 v[0:1], s[10:11], v[0:1]
	s_delay_alu instid0(VALU_DEP_1) | instskip(SKIP_3) | instid1(VALU_DEP_4)
	v_and_or_b32 v0, 0x1ff, v1, v0
	v_lshrrev_b32_e32 v6, 8, v1
	v_bfe_u32 v7, v1, 20, 11
	v_lshrrev_b32_e32 v1, 16, v1
	v_cmp_ne_u32_e32 vcc_lo, 0, v0
	s_wait_alu 0xfffd
	v_cndmask_b32_e64 v0, 0, 1, vcc_lo
	s_delay_alu instid0(VALU_DEP_1) | instskip(SKIP_2) | instid1(VALU_DEP_3)
	v_and_or_b32 v6, 0xffe, v6, v0
	v_sub_nc_u32_e32 v0, 0x3f1, v7
	v_add_nc_u32_e32 v7, 0xfffffc10, v7
	v_or_b32_e32 v18, 0x1000, v6
	s_delay_alu instid0(VALU_DEP_3) | instskip(SKIP_1) | instid1(VALU_DEP_2)
	v_med3_i32 v0, v0, 0, 13
	v_cmp_ne_u32_e64 s6, 0, v6
	v_lshrrev_b32_e32 v8, v0, v18
	s_delay_alu instid0(VALU_DEP_1) | instskip(NEXT) | instid1(VALU_DEP_1)
	v_lshlrev_b32_e32 v0, v0, v8
	v_cmp_ne_u32_e32 vcc_lo, v0, v18
	v_cvt_f32_f16_e32 v0, v5
	s_delay_alu instid0(VALU_DEP_1) | instskip(NEXT) | instid1(VALU_DEP_1)
	v_cvt_f64_f32_e32 v[18:19], v0
	v_mul_f64_e32 v[18:19], s[10:11], v[18:19]
	s_delay_alu instid0(VALU_DEP_1) | instskip(SKIP_1) | instid1(VALU_DEP_2)
	v_and_or_b32 v0, 0x1ff, v19, v18
	v_lshrrev_b32_e32 v5, 8, v19
	v_cmp_ne_u32_e64 s1, 0, v0
	s_wait_alu 0xf1ff
	s_delay_alu instid0(VALU_DEP_1) | instskip(NEXT) | instid1(VALU_DEP_1)
	v_cndmask_b32_e64 v0, 0, 1, s1
	v_and_or_b32 v0, 0xffe, v5, v0
	v_bfe_u32 v5, v19, 20, 11
	s_delay_alu instid0(VALU_DEP_2) | instskip(NEXT) | instid1(VALU_DEP_2)
	v_or_b32_e32 v24, 0x1000, v0
	v_sub_nc_u32_e32 v18, 0x3f1, v5
	v_add_nc_u32_e32 v5, 0xfffffc10, v5
	v_cmp_ne_u32_e64 s4, 0, v0
	s_delay_alu instid0(VALU_DEP_3) | instskip(NEXT) | instid1(VALU_DEP_1)
	v_med3_i32 v18, v18, 0, 13
	v_lshrrev_b32_e32 v25, v18, v24
	s_delay_alu instid0(VALU_DEP_1) | instskip(NEXT) | instid1(VALU_DEP_1)
	v_lshlrev_b32_e32 v18, v18, v25
	v_cmp_ne_u32_e64 s1, v18, v24
	v_lshl_or_b32 v24, v5, 12, v0
	v_cndmask_b32_e64 v0, 0, 1, s2
	v_cmp_gt_i32_e64 s2, 1, v20
	s_wait_alu 0xf1ff
	v_cndmask_b32_e64 v18, 0, 1, s1
	v_cmp_gt_i32_e64 s1, 1, v5
	v_or_b32_e32 v0, v21, v0
	v_lshl_or_b32 v21, v20, 12, v14
	s_delay_alu instid0(VALU_DEP_4) | instskip(NEXT) | instid1(VALU_DEP_2)
	v_or_b32_e32 v18, v25, v18
	v_cndmask_b32_e64 v0, v21, v0, s2
	v_cndmask_b32_e64 v21, 0, 1, s4
	s_wait_alu 0xf1ff
	s_delay_alu instid0(VALU_DEP_3) | instskip(NEXT) | instid1(VALU_DEP_2)
	v_cndmask_b32_e64 v18, v24, v18, s1
	v_lshl_or_b32 v21, v21, 9, 0x7c00
	s_delay_alu instid0(VALU_DEP_2) | instskip(SKIP_1) | instid1(VALU_DEP_2)
	v_and_b32_e32 v24, 7, v18
	v_lshrrev_b32_e32 v18, 2, v18
	v_cmp_lt_i32_e64 s1, 5, v24
	v_cmp_eq_u32_e64 s3, 3, v24
	scratch_load_b32 v24, off, off offset:108 th:TH_LOAD_LU ; 4-byte Folded Reload
	s_or_b32 s1, s3, s1
	v_cmp_ne_u32_e64 s3, 0, v14
	s_wait_alu 0xfffe
	v_add_co_ci_u32_e64 v18, s1, 0, v18, s1
	v_cmp_gt_i32_e64 s1, 31, v5
	s_wait_alu 0xf1ff
	v_cndmask_b32_e64 v14, 0, 1, s3
	s_delay_alu instid0(VALU_DEP_2) | instskip(SKIP_1) | instid1(VALU_DEP_3)
	v_cndmask_b32_e64 v18, 0x7c00, v18, s1
	v_cmp_eq_u32_e64 s1, 0x40f, v5
	v_lshl_or_b32 v14, v14, 9, 0x7c00
	s_wait_alu 0xf1ff
	s_delay_alu instid0(VALU_DEP_2) | instskip(SKIP_3) | instid1(VALU_DEP_3)
	v_cndmask_b32_e64 v5, v18, v21, s1
	v_lshrrev_b32_e32 v18, 16, v19
	v_and_b32_e32 v19, 7, v0
	v_lshrrev_b32_e32 v0, 2, v0
	v_and_or_b32 v5, 0x8000, v18, v5
	s_delay_alu instid0(VALU_DEP_3) | instskip(SKIP_1) | instid1(VALU_DEP_3)
	v_cmp_lt_i32_e64 s1, 5, v19
	v_cmp_eq_u32_e64 s2, 3, v19
	v_and_b32_e32 v5, 0xffff, v5
	s_delay_alu instid0(VALU_DEP_2) | instskip(SKIP_4) | instid1(VALU_DEP_1)
	s_or_b32 s1, s2, s1
	s_wait_alu 0xfffe
	v_add_co_ci_u32_e64 v0, s1, 0, v0, s1
	v_cmp_gt_i32_e64 s1, 31, v20
	s_wait_alu 0xf1ff
	v_cndmask_b32_e64 v0, 0x7c00, v0, s1
	v_cmp_eq_u32_e64 s1, 0x40f, v20
	s_wait_alu 0xf1ff
	s_delay_alu instid0(VALU_DEP_1)
	v_cndmask_b32_e64 v0, v0, v14, s1
	v_lshrrev_b32_e32 v14, 16, v15
	scratch_load_b32 v15, off, off offset:120 th:TH_LOAD_LU ; 4-byte Folded Reload
	v_and_or_b32 v0, 0x8000, v14, v0
	scratch_load_b32 v14, off, off offset:124 th:TH_LOAD_LU ; 4-byte Folded Reload
	v_lshl_or_b32 v0, v0, 16, v5
	global_store_b32 v[12:13], v0, off
	v_mul_f16_e32 v0, v29, v22
	v_add_co_u32 v12, s1, v12, s8
	s_wait_alu 0xf1ff
	v_add_co_ci_u32_e64 v13, s1, s9, v13, s1
	s_delay_alu instid0(VALU_DEP_3) | instskip(SKIP_1) | instid1(VALU_DEP_2)
	v_fmac_f16_e32 v0, v28, v3
	v_lshrrev_b32_e32 v3, 16, v4
	v_cvt_f32_f16_e32 v0, v0
	s_wait_loadcnt 0x0
	s_delay_alu instid0(VALU_DEP_2) | instskip(SKIP_1) | instid1(VALU_DEP_2)
	v_mul_f16_e32 v5, v14, v3
	v_mul_f16_e32 v14, v14, v4
	v_fmac_f16_e32 v5, v15, v4
	s_delay_alu instid0(VALU_DEP_2) | instskip(SKIP_1) | instid1(VALU_DEP_3)
	v_fma_f16 v18, v15, v3, -v14
	v_cvt_f64_f32_e32 v[3:4], v0
	v_cvt_f32_f16_e32 v5, v5
	s_delay_alu instid0(VALU_DEP_2) | instskip(NEXT) | instid1(VALU_DEP_1)
	v_mul_f64_e32 v[3:4], s[10:11], v[3:4]
	v_and_or_b32 v0, 0x1ff, v4, v3
	v_lshrrev_b32_e32 v3, 8, v4
	s_delay_alu instid0(VALU_DEP_2) | instskip(SKIP_1) | instid1(VALU_DEP_1)
	v_cmp_ne_u32_e64 s1, 0, v0
	s_wait_alu 0xf1ff
	v_cndmask_b32_e64 v0, 0, 1, s1
	s_delay_alu instid0(VALU_DEP_1) | instskip(SKIP_2) | instid1(VALU_DEP_3)
	v_and_or_b32 v0, 0xffe, v3, v0
	v_bfe_u32 v3, v4, 20, 11
	v_lshrrev_b32_e32 v4, 16, v4
	v_or_b32_e32 v15, 0x1000, v0
	s_delay_alu instid0(VALU_DEP_3) | instskip(SKIP_1) | instid1(VALU_DEP_2)
	v_sub_nc_u32_e32 v14, 0x3f1, v3
	v_add_nc_u32_e32 v3, 0xfffffc10, v3
	v_med3_i32 v14, v14, 0, 13
	s_delay_alu instid0(VALU_DEP_1) | instskip(NEXT) | instid1(VALU_DEP_1)
	v_lshrrev_b32_e32 v19, v14, v15
	v_lshlrev_b32_e32 v14, v14, v19
	s_delay_alu instid0(VALU_DEP_1) | instskip(SKIP_2) | instid1(VALU_DEP_2)
	v_cmp_ne_u32_e64 s1, v14, v15
	v_lshl_or_b32 v15, v3, 12, v0
	s_wait_alu 0xf1ff
	v_cndmask_b32_e64 v14, 0, 1, s1
	v_cmp_gt_i32_e64 s1, 1, v3
	s_delay_alu instid0(VALU_DEP_2)
	v_or_b32_e32 v14, v19, v14
	v_mul_f16_e32 v19, v27, v23
	scratch_load_b32 v23, off, off offset:104 th:TH_LOAD_LU ; 4-byte Folded Reload
	s_wait_alu 0xf1ff
	v_cndmask_b32_e64 v14, v15, v14, s1
	v_fmac_f16_e32 v19, v26, v16
	s_delay_alu instid0(VALU_DEP_2) | instskip(NEXT) | instid1(VALU_DEP_1)
	v_and_b32_e32 v15, 7, v14
	v_cmp_lt_i32_e64 s1, 5, v15
	v_cmp_eq_u32_e64 s2, 3, v15
	v_cndmask_b32_e64 v15, 0, 1, s0
	v_cmp_ne_u32_e64 s0, 0, v0
	v_add_nc_u32_e32 v0, 0xfffffc10, v10
	s_delay_alu instid0(VALU_DEP_4) | instskip(NEXT) | instid1(VALU_DEP_3)
	s_or_b32 s1, s2, s1
	v_or_b32_e32 v11, v11, v15
	v_cmp_ne_u32_e64 s2, 0, v9
	s_delay_alu instid0(VALU_DEP_3) | instskip(SKIP_2) | instid1(VALU_DEP_1)
	v_lshl_or_b32 v10, v0, 12, v9
	v_cmp_gt_i32_e64 s3, 1, v0
	s_wait_alu 0xf1ff
	v_cndmask_b32_e64 v10, v10, v11, s3
	v_lshrrev_b32_e32 v11, 2, v14
	v_cndmask_b32_e64 v14, 0, 1, s0
	v_cmp_eq_u32_e64 s0, 0x40f, v3
	s_delay_alu instid0(VALU_DEP_4)
	v_lshrrev_b32_e32 v9, 2, v10
	s_wait_alu 0xfffe
	v_add_co_ci_u32_e64 v11, s1, 0, v11, s1
	v_cmp_gt_i32_e64 s1, 31, v3
	v_lshl_or_b32 v14, v14, 9, 0x7c00
	s_wait_alu 0xf1ff
	s_delay_alu instid0(VALU_DEP_2) | instskip(NEXT) | instid1(VALU_DEP_1)
	v_cndmask_b32_e64 v11, 0x7c00, v11, s1
	v_cndmask_b32_e64 v3, v11, v14, s0
	v_and_b32_e32 v11, 7, v10
	v_cndmask_b32_e64 v10, 0, 1, s2
	ds_load_2addr_b32 v[14:15], v251 offset0:112 offset1:202
	v_and_or_b32 v3, 0x8000, v4, v3
	v_cmp_lt_i32_e64 s0, 5, v11
	v_cmp_eq_u32_e64 s1, 3, v11
	v_lshl_or_b32 v10, v10, 9, 0x7c00
	s_delay_alu instid0(VALU_DEP_2) | instskip(SKIP_4) | instid1(VALU_DEP_1)
	s_or_b32 s0, s1, s0
	s_wait_alu 0xfffe
	v_add_co_ci_u32_e64 v9, s0, 0, v9, s0
	v_cmp_gt_i32_e64 s0, 31, v0
	s_wait_alu 0xf1ff
	v_cndmask_b32_e64 v9, 0x7c00, v9, s0
	v_cmp_eq_u32_e64 s0, 0x40f, v0
	s_wait_dscnt 0x0
	v_lshrrev_b32_e32 v20, 16, v14
	s_wait_alu 0xf1ff
	s_delay_alu instid0(VALU_DEP_2) | instskip(SKIP_3) | instid1(VALU_DEP_1)
	v_cndmask_b32_e64 v0, v9, v10, s0
	scratch_load_b32 v10, off, off offset:112 th:TH_LOAD_LU ; 4-byte Folded Reload
	v_and_or_b32 v0, 0x8000, v2, v0
	v_and_b32_e32 v2, 0xffff, v3
	v_lshl_or_b32 v0, v0, 16, v2
	scratch_load_b32 v2, off, off offset:116 th:TH_LOAD_LU ; 4-byte Folded Reload
	global_store_b32 v[12:13], v0, off
	v_lshrrev_b32_e32 v0, 16, v17
	v_add_co_u32 v12, s0, v12, s14
	s_wait_alu 0xf1ff
	v_add_co_ci_u32_e64 v13, s0, s15, v13, s0
	s_wait_loadcnt 0x0
	v_mul_f16_e32 v4, v2, v0
	v_mul_f16_e32 v9, v2, v17
	;; [unrolled: 1-line block ×3, first 2 shown]
	s_delay_alu instid0(VALU_DEP_3) | instskip(NEXT) | instid1(VALU_DEP_3)
	v_fmac_f16_e32 v4, v10, v17
	v_fma_f16 v9, v10, v0, -v9
	s_delay_alu instid0(VALU_DEP_3) | instskip(SKIP_1) | instid1(VALU_DEP_2)
	v_fma_f16 v2, v23, v20, -v2
	v_cvt_f32_f16_e32 v0, v18
	v_cvt_f32_f16_e32 v2, v2
	s_delay_alu instid0(VALU_DEP_1) | instskip(NEXT) | instid1(VALU_DEP_1)
	v_cvt_f64_f32_e32 v[2:3], v2
	v_mul_f64_e32 v[16:17], s[10:11], v[2:3]
	s_delay_alu instid0(VALU_DEP_1) | instskip(SKIP_2) | instid1(VALU_DEP_3)
	v_and_or_b32 v2, 0x1ff, v17, v16
	v_lshrrev_b32_e32 v3, 8, v17
	v_bfe_u32 v21, v17, 20, 11
	v_cmp_ne_u32_e64 s0, 0, v2
	s_wait_alu 0xf1ff
	s_delay_alu instid0(VALU_DEP_1) | instskip(NEXT) | instid1(VALU_DEP_1)
	v_cndmask_b32_e64 v2, 0, 1, s0
	v_and_or_b32 v16, 0xffe, v3, v2
	v_sub_nc_u32_e32 v2, 0x3f1, v21
	s_delay_alu instid0(VALU_DEP_2) | instskip(NEXT) | instid1(VALU_DEP_2)
	v_or_b32_e32 v3, 0x1000, v16
	v_med3_i32 v2, v2, 0, 13
	s_delay_alu instid0(VALU_DEP_1) | instskip(NEXT) | instid1(VALU_DEP_1)
	v_lshrrev_b32_e32 v22, v2, v3
	v_lshlrev_b32_e32 v2, v2, v22
	s_delay_alu instid0(VALU_DEP_1) | instskip(SKIP_1) | instid1(VALU_DEP_1)
	v_cmp_ne_u32_e64 s1, v2, v3
	v_cvt_f64_f32_e32 v[2:3], v0
	v_mul_f64_e32 v[2:3], s[10:11], v[2:3]
	s_delay_alu instid0(VALU_DEP_1) | instskip(SKIP_2) | instid1(VALU_DEP_3)
	v_and_or_b32 v0, 0x1ff, v3, v2
	v_lshrrev_b32_e32 v2, 8, v3
	v_bfe_u32 v10, v3, 20, 11
	v_cmp_ne_u32_e64 s0, 0, v0
	s_wait_alu 0xf1ff
	s_delay_alu instid0(VALU_DEP_1) | instskip(NEXT) | instid1(VALU_DEP_1)
	v_cndmask_b32_e64 v0, 0, 1, s0
	v_and_or_b32 v2, 0xffe, v2, v0
	v_sub_nc_u32_e32 v0, 0x3f1, v10
	s_delay_alu instid0(VALU_DEP_2) | instskip(NEXT) | instid1(VALU_DEP_2)
	v_or_b32_e32 v18, 0x1000, v2
	v_med3_i32 v0, v0, 0, 13
	s_delay_alu instid0(VALU_DEP_1) | instskip(NEXT) | instid1(VALU_DEP_1)
	v_lshrrev_b32_e32 v11, v0, v18
	v_lshlrev_b32_e32 v0, v0, v11
	s_delay_alu instid0(VALU_DEP_1)
	v_cmp_ne_u32_e64 s0, v0, v18
	v_mul_f16_e32 v18, v24, v20
	scratch_load_b32 v20, off, off offset:100 th:TH_LOAD_LU ; 4-byte Folded Reload
	v_fmac_f16_e32 v18, v23, v14
	scratch_load_b32 v23, off, off offset:96 th:TH_LOAD_LU ; 4-byte Folded Reload
	v_lshrrev_b32_e32 v14, 16, v15
	s_wait_loadcnt 0x1
	s_delay_alu instid0(VALU_DEP_1) | instskip(SKIP_2) | instid1(VALU_DEP_2)
	v_mul_f16_e32 v0, v20, v14
	v_mul_f16_e32 v20, v20, v15
	s_wait_loadcnt 0x0
	v_fmac_f16_e32 v0, v23, v15
	s_delay_alu instid0(VALU_DEP_2) | instskip(SKIP_1) | instid1(VALU_DEP_3)
	v_fma_f16 v20, v23, v14, -v20
	v_cvt_f32_f16_e32 v14, v19
	v_cvt_f32_f16_e32 v0, v0
	s_delay_alu instid0(VALU_DEP_2) | instskip(NEXT) | instid1(VALU_DEP_1)
	v_cvt_f64_f32_e32 v[14:15], v14
	v_mul_f64_e32 v[14:15], s[10:11], v[14:15]
	s_delay_alu instid0(VALU_DEP_1) | instskip(SKIP_1) | instid1(VALU_DEP_2)
	v_and_or_b32 v14, 0x1ff, v15, v14
	v_lshrrev_b32_e32 v19, 8, v15
	v_cmp_ne_u32_e64 s2, 0, v14
	s_wait_alu 0xf1ff
	s_delay_alu instid0(VALU_DEP_1) | instskip(NEXT) | instid1(VALU_DEP_1)
	v_cndmask_b32_e64 v14, 0, 1, s2
	v_and_or_b32 v14, 0xffe, v19, v14
	v_bfe_u32 v19, v15, 20, 11
	s_delay_alu instid0(VALU_DEP_2) | instskip(NEXT) | instid1(VALU_DEP_2)
	v_or_b32_e32 v24, 0x1000, v14
	v_sub_nc_u32_e32 v23, 0x3f1, v19
	v_add_nc_u32_e32 v19, 0xfffffc10, v19
	v_cmp_ne_u32_e64 s3, 0, v14
	s_delay_alu instid0(VALU_DEP_3) | instskip(NEXT) | instid1(VALU_DEP_1)
	v_med3_i32 v23, v23, 0, 13
	v_lshrrev_b32_e32 v25, v23, v24
	s_delay_alu instid0(VALU_DEP_1) | instskip(NEXT) | instid1(VALU_DEP_1)
	v_lshlrev_b32_e32 v23, v23, v25
	v_cmp_ne_u32_e64 s2, v23, v24
	v_lshl_or_b32 v24, v19, 12, v14
	s_wait_alu 0xf1ff
	s_delay_alu instid0(VALU_DEP_2) | instskip(SKIP_1) | instid1(VALU_DEP_2)
	v_cndmask_b32_e64 v23, 0, 1, s2
	v_cmp_gt_i32_e64 s2, 1, v19
	v_or_b32_e32 v23, v25, v23
	s_wait_alu 0xf1ff
	s_delay_alu instid0(VALU_DEP_1) | instskip(SKIP_3) | instid1(VALU_DEP_2)
	v_cndmask_b32_e64 v23, v24, v23, s2
	s_wait_alu 0xfffd
	v_cndmask_b32_e64 v24, 0, 1, vcc_lo
	v_cmp_gt_i32_e32 vcc_lo, 1, v7
	v_or_b32_e32 v8, v8, v24
	v_lshl_or_b32 v24, v7, 12, v6
	v_lshrrev_b32_e32 v6, 2, v23
	s_wait_alu 0xfffd
	s_delay_alu instid0(VALU_DEP_2) | instskip(SKIP_1) | instid1(VALU_DEP_2)
	v_cndmask_b32_e32 v8, v24, v8, vcc_lo
	v_and_b32_e32 v24, 7, v23
	v_and_b32_e32 v14, 7, v8
	s_delay_alu instid0(VALU_DEP_2) | instskip(SKIP_2) | instid1(VALU_DEP_4)
	v_cmp_lt_i32_e32 vcc_lo, 5, v24
	v_cmp_eq_u32_e64 s2, 3, v24
	v_lshrrev_b32_e32 v8, 2, v8
	v_cmp_lt_i32_e64 s4, 5, v14
	v_cmp_eq_u32_e64 s5, 3, v14
	s_delay_alu instid0(VALU_DEP_4) | instskip(SKIP_4) | instid1(VALU_DEP_3)
	s_or_b32 vcc_lo, s2, vcc_lo
	v_cndmask_b32_e64 v14, 0, 1, s3
	s_wait_alu 0xfffe
	v_add_co_ci_u32_e32 v6, vcc_lo, 0, v6, vcc_lo
	v_cmp_gt_i32_e32 vcc_lo, 31, v19
	v_lshl_or_b32 v14, v14, 9, 0x7c00
	s_wait_alu 0xfffd
	s_delay_alu instid0(VALU_DEP_3) | instskip(SKIP_2) | instid1(VALU_DEP_2)
	v_cndmask_b32_e32 v6, 0x7c00, v6, vcc_lo
	v_cmp_eq_u32_e32 vcc_lo, 0x40f, v19
	s_wait_alu 0xfffd
	v_cndmask_b32_e32 v6, v6, v14, vcc_lo
	s_or_b32 vcc_lo, s5, s4
	v_lshrrev_b32_e32 v14, 16, v15
	s_wait_alu 0xfffe
	v_add_co_ci_u32_e32 v8, vcc_lo, 0, v8, vcc_lo
	v_cmp_gt_i32_e32 vcc_lo, 31, v7
	v_cndmask_b32_e64 v15, 0, 1, s6
	v_and_or_b32 v6, 0x8000, v14, v6
	s_wait_alu 0xfffd
	v_cndmask_b32_e32 v8, 0x7c00, v8, vcc_lo
	s_delay_alu instid0(VALU_DEP_3) | instskip(SKIP_2) | instid1(VALU_DEP_2)
	v_lshl_or_b32 v15, v15, 9, 0x7c00
	v_cmp_eq_u32_e32 vcc_lo, 0x40f, v7
	s_wait_alu 0xfffd
	v_dual_cndmask_b32 v7, v8, v15 :: v_dual_and_b32 v6, 0xffff, v6
	s_delay_alu instid0(VALU_DEP_1) | instskip(NEXT) | instid1(VALU_DEP_1)
	v_and_or_b32 v1, 0x8000, v1, v7
	v_lshl_or_b32 v1, v1, 16, v6
	v_add_co_u32 v6, vcc_lo, v12, s14
	s_wait_alu 0xfffd
	v_add_co_ci_u32_e32 v7, vcc_lo, s15, v13, vcc_lo
	global_store_b32 v[12:13], v1, off
	v_cvt_f32_f16_e32 v1, v18
	s_delay_alu instid0(VALU_DEP_1) | instskip(NEXT) | instid1(VALU_DEP_1)
	v_cvt_f64_f32_e32 v[12:13], v1
	v_mul_f64_e32 v[12:13], s[10:11], v[12:13]
	s_delay_alu instid0(VALU_DEP_1) | instskip(SKIP_1) | instid1(VALU_DEP_2)
	v_and_or_b32 v1, 0x1ff, v13, v12
	v_lshrrev_b32_e32 v8, 8, v13
	v_cmp_ne_u32_e32 vcc_lo, 0, v1
	s_wait_alu 0xfffd
	v_cndmask_b32_e64 v1, 0, 1, vcc_lo
	s_delay_alu instid0(VALU_DEP_1) | instskip(SKIP_1) | instid1(VALU_DEP_2)
	v_and_or_b32 v1, 0xffe, v8, v1
	v_bfe_u32 v8, v13, 20, 11
	v_or_b32_e32 v14, 0x1000, v1
	s_delay_alu instid0(VALU_DEP_2) | instskip(SKIP_1) | instid1(VALU_DEP_2)
	v_sub_nc_u32_e32 v12, 0x3f1, v8
	v_add_nc_u32_e32 v8, 0xfffffc10, v8
	v_med3_i32 v12, v12, 0, 13
	s_delay_alu instid0(VALU_DEP_1) | instskip(NEXT) | instid1(VALU_DEP_1)
	v_lshrrev_b32_e32 v15, v12, v14
	v_lshlrev_b32_e32 v12, v12, v15
	s_delay_alu instid0(VALU_DEP_1) | instskip(SKIP_4) | instid1(VALU_DEP_2)
	v_cmp_ne_u32_e32 vcc_lo, v12, v14
	v_lshl_or_b32 v14, v8, 12, v1
	s_wait_alu 0xfffd
	v_cndmask_b32_e64 v12, 0, 1, vcc_lo
	v_cmp_gt_i32_e32 vcc_lo, 1, v8
	v_or_b32_e32 v12, v15, v12
	s_wait_alu 0xfffd
	s_delay_alu instid0(VALU_DEP_1) | instskip(NEXT) | instid1(VALU_DEP_1)
	v_cndmask_b32_e32 v12, v14, v12, vcc_lo
	v_and_b32_e32 v14, 7, v12
	v_lshrrev_b32_e32 v12, 2, v12
	s_delay_alu instid0(VALU_DEP_2) | instskip(SKIP_4) | instid1(VALU_DEP_4)
	v_cmp_lt_i32_e32 vcc_lo, 5, v14
	v_cmp_eq_u32_e64 s2, 3, v14
	v_cndmask_b32_e64 v14, 0, 1, s1
	v_cmp_ne_u32_e64 s1, 0, v1
	v_add_nc_u32_e32 v1, 0xfffffc10, v21
	s_or_b32 vcc_lo, s2, vcc_lo
	s_delay_alu instid0(VALU_DEP_3)
	v_or_b32_e32 v14, v22, v14
	s_wait_alu 0xfffe
	v_add_co_ci_u32_e32 v12, vcc_lo, 0, v12, vcc_lo
	v_lshl_or_b32 v15, v1, 12, v16
	v_cmp_gt_i32_e64 s3, 1, v1
	v_cmp_gt_i32_e32 vcc_lo, 31, v8
	v_cmp_ne_u32_e64 s2, 0, v16
	s_wait_alu 0xf1ff
	s_delay_alu instid0(VALU_DEP_3) | instskip(SKIP_4) | instid1(VALU_DEP_3)
	v_cndmask_b32_e64 v14, v15, v14, s3
	v_cndmask_b32_e64 v15, 0, 1, s1
	s_wait_alu 0xfffd
	v_cndmask_b32_e32 v12, 0x7c00, v12, vcc_lo
	v_cmp_eq_u32_e32 vcc_lo, 0x40f, v8
	v_lshl_or_b32 v15, v15, 9, 0x7c00
	s_wait_alu 0xfffd
	s_delay_alu instid0(VALU_DEP_1) | instskip(SKIP_2) | instid1(VALU_DEP_2)
	v_cndmask_b32_e32 v8, v12, v15, vcc_lo
	v_lshrrev_b32_e32 v12, 16, v13
	v_and_b32_e32 v13, 7, v14
	v_and_or_b32 v8, 0x8000, v12, v8
	s_delay_alu instid0(VALU_DEP_2) | instskip(SKIP_4) | instid1(VALU_DEP_4)
	v_cmp_lt_i32_e32 vcc_lo, 5, v13
	v_cmp_eq_u32_e64 s1, 3, v13
	v_lshrrev_b32_e32 v13, 2, v14
	v_cndmask_b32_e64 v14, 0, 1, s2
	v_and_b32_e32 v8, 0xffff, v8
	s_or_b32 vcc_lo, s1, vcc_lo
	s_wait_alu 0xfffe
	v_add_co_ci_u32_e32 v13, vcc_lo, 0, v13, vcc_lo
	v_cmp_gt_i32_e32 vcc_lo, 31, v1
	v_lshl_or_b32 v14, v14, 9, 0x7c00
	s_wait_alu 0xfffd
	s_delay_alu instid0(VALU_DEP_3) | instskip(SKIP_2) | instid1(VALU_DEP_2)
	v_cndmask_b32_e32 v13, 0x7c00, v13, vcc_lo
	v_cmp_eq_u32_e32 vcc_lo, 0x40f, v1
	s_wait_alu 0xfffd
	v_cndmask_b32_e32 v1, v13, v14, vcc_lo
	v_lshrrev_b32_e32 v13, 16, v17
	v_add_co_u32 v12, vcc_lo, v6, s8
	ds_load_2addr_b32 v[17:18], v157 offset0:28 offset1:118
	v_and_or_b32 v1, 0x8000, v13, v1
	s_wait_alu 0xfffd
	v_add_co_ci_u32_e32 v13, vcc_lo, s9, v7, vcc_lo
	s_delay_alu instid0(VALU_DEP_2) | instskip(SKIP_2) | instid1(VALU_DEP_1)
	v_lshl_or_b32 v1, v1, 16, v8
	global_store_b32 v[6:7], v1, off
	v_cvt_f64_f32_e32 v[5:6], v5
	v_mul_f64_e32 v[5:6], s[10:11], v[5:6]
	s_delay_alu instid0(VALU_DEP_1) | instskip(SKIP_1) | instid1(VALU_DEP_2)
	v_and_or_b32 v1, 0x1ff, v6, v5
	v_lshrrev_b32_e32 v5, 8, v6
	v_cmp_ne_u32_e32 vcc_lo, 0, v1
	s_wait_alu 0xfffd
	v_cndmask_b32_e64 v1, 0, 1, vcc_lo
	s_delay_alu instid0(VALU_DEP_1) | instskip(SKIP_1) | instid1(VALU_DEP_2)
	v_and_or_b32 v1, 0xffe, v5, v1
	v_bfe_u32 v5, v6, 20, 11
	v_or_b32_e32 v8, 0x1000, v1
	s_delay_alu instid0(VALU_DEP_2) | instskip(SKIP_1) | instid1(VALU_DEP_2)
	v_sub_nc_u32_e32 v7, 0x3f1, v5
	v_add_nc_u32_e32 v5, 0xfffffc10, v5
	v_med3_i32 v7, v7, 0, 13
	s_delay_alu instid0(VALU_DEP_1) | instskip(NEXT) | instid1(VALU_DEP_1)
	v_lshrrev_b32_e32 v14, v7, v8
	v_lshlrev_b32_e32 v7, v7, v14
	s_delay_alu instid0(VALU_DEP_1) | instskip(SKIP_4) | instid1(VALU_DEP_2)
	v_cmp_ne_u32_e32 vcc_lo, v7, v8
	v_lshl_or_b32 v8, v5, 12, v1
	s_wait_alu 0xfffd
	v_cndmask_b32_e64 v7, 0, 1, vcc_lo
	v_cmp_gt_i32_e32 vcc_lo, 1, v5
	v_or_b32_e32 v7, v14, v7
	s_wait_alu 0xfffd
	s_delay_alu instid0(VALU_DEP_1) | instskip(SKIP_1) | instid1(VALU_DEP_1)
	v_cndmask_b32_e32 v14, v8, v7, vcc_lo
	v_cvt_f32_f16_e32 v7, v9
	v_cvt_f64_f32_e32 v[7:8], v7
	s_delay_alu instid0(VALU_DEP_1) | instskip(NEXT) | instid1(VALU_DEP_1)
	v_mul_f64_e32 v[7:8], s[10:11], v[7:8]
	v_and_or_b32 v7, 0x1ff, v8, v7
	v_lshrrev_b32_e32 v9, 8, v8
	s_delay_alu instid0(VALU_DEP_2) | instskip(SKIP_2) | instid1(VALU_DEP_1)
	v_cmp_ne_u32_e32 vcc_lo, 0, v7
	s_wait_alu 0xfffd
	v_cndmask_b32_e64 v7, 0, 1, vcc_lo
	v_and_or_b32 v19, 0xffe, v9, v7
	v_and_b32_e32 v7, 7, v14
	s_delay_alu instid0(VALU_DEP_1) | instskip(SKIP_4) | instid1(VALU_DEP_4)
	v_cmp_lt_i32_e32 vcc_lo, 5, v7
	v_cmp_eq_u32_e64 s1, 3, v7
	v_cndmask_b32_e64 v7, 0, 1, s0
	v_cmp_ne_u32_e64 s0, 0, v1
	v_add_nc_u32_e32 v1, 0xfffffc10, v10
	s_or_b32 vcc_lo, s1, vcc_lo
	s_delay_alu instid0(VALU_DEP_3) | instskip(NEXT) | instid1(VALU_DEP_3)
	v_or_b32_e32 v7, v11, v7
	v_cndmask_b32_e64 v10, 0, 1, s0
	s_delay_alu instid0(VALU_DEP_3) | instskip(SKIP_2) | instid1(VALU_DEP_4)
	v_lshl_or_b32 v9, v1, 12, v2
	v_cmp_gt_i32_e64 s2, 1, v1
	v_cmp_ne_u32_e64 s1, 0, v2
	v_lshl_or_b32 v10, v10, 9, 0x7c00
	s_wait_alu 0xf1ff
	s_delay_alu instid0(VALU_DEP_3) | instskip(SKIP_1) | instid1(VALU_DEP_2)
	v_cndmask_b32_e64 v7, v9, v7, s2
	v_lshrrev_b32_e32 v9, 2, v14
	v_lshrrev_b32_e32 v2, 2, v7
	s_wait_alu 0xfffe
	s_delay_alu instid0(VALU_DEP_2) | instskip(SKIP_2) | instid1(VALU_DEP_2)
	v_add_co_ci_u32_e32 v9, vcc_lo, 0, v9, vcc_lo
	v_cmp_gt_i32_e32 vcc_lo, 31, v5
	s_wait_alu 0xfffd
	v_cndmask_b32_e32 v9, 0x7c00, v9, vcc_lo
	v_cmp_eq_u32_e32 vcc_lo, 0x40f, v5
	s_wait_alu 0xfffd
	s_delay_alu instid0(VALU_DEP_2) | instskip(SKIP_1) | instid1(VALU_DEP_1)
	v_cndmask_b32_e32 v5, v9, v10, vcc_lo
	v_and_b32_e32 v9, 7, v7
	v_cmp_lt_i32_e32 vcc_lo, 5, v9
	v_cmp_eq_u32_e64 s0, 3, v9
	v_lshrrev_b32_e32 v9, 16, v6
	v_cndmask_b32_e64 v6, 0, 1, s1
	s_delay_alu instid0(VALU_DEP_3)
	s_or_b32 vcc_lo, s0, vcc_lo
	v_add_co_u32 v11, s0, v12, s14
	s_wait_alu 0xfffe
	v_add_co_ci_u32_e32 v2, vcc_lo, 0, v2, vcc_lo
	v_cmp_gt_i32_e32 vcc_lo, 31, v1
	v_lshl_or_b32 v6, v6, 9, 0x7c00
	s_wait_alu 0xfffd
	s_delay_alu instid0(VALU_DEP_3)
	v_cndmask_b32_e32 v2, 0x7c00, v2, vcc_lo
	v_cmp_eq_u32_e32 vcc_lo, 0x40f, v1
	v_cvt_f32_f16_e32 v1, v20
	v_bfe_u32 v20, v8, 20, 11
	v_lshrrev_b32_e32 v8, 16, v8
	s_wait_alu 0xfffd
	v_cndmask_b32_e32 v10, v2, v6, vcc_lo
	v_cvt_f64_f32_e32 v[1:2], v1
	s_delay_alu instid0(VALU_DEP_1) | instskip(SKIP_4) | instid1(VALU_DEP_4)
	v_mul_f64_e32 v[6:7], s[10:11], v[1:2]
	v_lshrrev_b32_e32 v1, 16, v3
	v_sub_nc_u32_e32 v3, 0x3f1, v20
	v_and_or_b32 v2, 0x8000, v9, v5
	v_or_b32_e32 v5, 0x1000, v19
	v_and_or_b32 v1, 0x8000, v1, v10
	s_delay_alu instid0(VALU_DEP_4) | instskip(NEXT) | instid1(VALU_DEP_4)
	v_med3_i32 v3, v3, 0, 13
	v_and_b32_e32 v2, 0xffff, v2
	s_delay_alu instid0(VALU_DEP_2) | instskip(NEXT) | instid1(VALU_DEP_2)
	v_lshrrev_b32_e32 v21, v3, v5
	v_lshl_or_b32 v1, v1, 16, v2
	s_delay_alu instid0(VALU_DEP_2)
	v_lshlrev_b32_e32 v2, v3, v21
	scratch_load_b32 v3, off, off offset:92 th:TH_LOAD_LU ; 4-byte Folded Reload
	global_store_b32 v[12:13], v1, off
	s_wait_alu 0xf1ff
	v_add_co_ci_u32_e64 v12, s0, s15, v13, s0
	v_cmp_ne_u32_e32 vcc_lo, v2, v5
	v_and_or_b32 v1, 0x1ff, v7, v6
	scratch_load_b32 v6, off, off offset:88 th:TH_LOAD_LU ; 4-byte Folded Reload
	v_lshrrev_b32_e32 v2, 8, v7
	v_bfe_u32 v15, v7, 20, 11
	v_lshrrev_b32_e32 v7, 16, v7
	v_cmp_ne_u32_e64 s0, 0, v1
	s_wait_alu 0xf1ff
	s_delay_alu instid0(VALU_DEP_1) | instskip(NEXT) | instid1(VALU_DEP_1)
	v_cndmask_b32_e64 v1, 0, 1, s0
	v_and_or_b32 v14, 0xffe, v2, v1
	v_sub_nc_u32_e32 v1, 0x3f1, v15
	v_add_nc_u32_e32 v15, 0xfffffc10, v15
	s_delay_alu instid0(VALU_DEP_3) | instskip(NEXT) | instid1(VALU_DEP_3)
	v_or_b32_e32 v2, 0x1000, v14
	v_med3_i32 v1, v1, 0, 13
	s_delay_alu instid0(VALU_DEP_1) | instskip(NEXT) | instid1(VALU_DEP_1)
	v_lshrrev_b32_e32 v16, v1, v2
	v_lshlrev_b32_e32 v1, v1, v16
	s_delay_alu instid0(VALU_DEP_1) | instskip(SKIP_4) | instid1(VALU_DEP_2)
	v_cmp_ne_u32_e64 s1, v1, v2
	s_wait_dscnt 0x0
	v_lshrrev_b32_e32 v1, 16, v17
	s_wait_loadcnt 0x1
	v_mul_f16_e32 v2, v3, v17
	v_mul_f16_e32 v3, v3, v1
	s_wait_loadcnt 0x0
	s_delay_alu instid0(VALU_DEP_1) | instskip(NEXT) | instid1(VALU_DEP_3)
	v_fmac_f16_e32 v3, v6, v17
	v_fma_f16 v5, v6, v1, -v2
	s_delay_alu instid0(VALU_DEP_2) | instskip(NEXT) | instid1(VALU_DEP_1)
	v_cvt_f32_f16_e32 v1, v3
	v_cvt_f64_f32_e32 v[1:2], v1
	s_delay_alu instid0(VALU_DEP_1) | instskip(NEXT) | instid1(VALU_DEP_1)
	v_mul_f64_e32 v[1:2], s[10:11], v[1:2]
	v_and_or_b32 v1, 0x1ff, v2, v1
	v_lshrrev_b32_e32 v3, 8, v2
	v_bfe_u32 v9, v2, 20, 11
	s_delay_alu instid0(VALU_DEP_3) | instskip(SKIP_1) | instid1(VALU_DEP_1)
	v_cmp_ne_u32_e64 s0, 0, v1
	s_wait_alu 0xf1ff
	v_cndmask_b32_e64 v1, 0, 1, s0
	s_delay_alu instid0(VALU_DEP_1) | instskip(SKIP_1) | instid1(VALU_DEP_2)
	v_and_or_b32 v3, 0xffe, v3, v1
	v_sub_nc_u32_e32 v1, 0x3f1, v9
	v_or_b32_e32 v6, 0x1000, v3
	s_delay_alu instid0(VALU_DEP_2) | instskip(NEXT) | instid1(VALU_DEP_1)
	v_med3_i32 v1, v1, 0, 13
	v_lshrrev_b32_e32 v10, v1, v6
	s_delay_alu instid0(VALU_DEP_1) | instskip(NEXT) | instid1(VALU_DEP_1)
	v_lshlrev_b32_e32 v1, v1, v10
	v_cmp_ne_u32_e64 s0, v1, v6
	v_cvt_f32_f16_e32 v1, v5
	s_delay_alu instid0(VALU_DEP_1) | instskip(NEXT) | instid1(VALU_DEP_1)
	v_cvt_f64_f32_e32 v[5:6], v1
	v_mul_f64_e32 v[5:6], s[10:11], v[5:6]
	s_delay_alu instid0(VALU_DEP_1) | instskip(SKIP_2) | instid1(VALU_DEP_3)
	v_and_or_b32 v1, 0x1ff, v6, v5
	v_lshrrev_b32_e32 v5, 8, v6
	v_bfe_u32 v17, v6, 20, 11
	v_cmp_ne_u32_e64 s2, 0, v1
	s_wait_alu 0xf1ff
	s_delay_alu instid0(VALU_DEP_1) | instskip(NEXT) | instid1(VALU_DEP_1)
	v_cndmask_b32_e64 v1, 0, 1, s2
	v_and_or_b32 v13, 0xffe, v5, v1
	v_sub_nc_u32_e32 v1, 0x3f1, v17
	s_delay_alu instid0(VALU_DEP_2) | instskip(NEXT) | instid1(VALU_DEP_2)
	v_or_b32_e32 v5, 0x1000, v13
	v_med3_i32 v1, v1, 0, 13
	s_delay_alu instid0(VALU_DEP_1) | instskip(NEXT) | instid1(VALU_DEP_1)
	v_lshrrev_b32_e32 v23, v1, v5
	v_lshlrev_b32_e32 v1, v1, v23
	s_delay_alu instid0(VALU_DEP_1) | instskip(SKIP_1) | instid1(VALU_DEP_1)
	v_cmp_ne_u32_e64 s2, v1, v5
	v_cvt_f32_f16_e32 v1, v4
	v_cvt_f64_f32_e32 v[4:5], v1
	s_delay_alu instid0(VALU_DEP_1) | instskip(NEXT) | instid1(VALU_DEP_1)
	v_mul_f64_e32 v[4:5], s[10:11], v[4:5]
	v_and_or_b32 v1, 0x1ff, v5, v4
	v_lshrrev_b32_e32 v4, 8, v5
	s_delay_alu instid0(VALU_DEP_2) | instskip(SKIP_1) | instid1(VALU_DEP_1)
	v_cmp_ne_u32_e64 s3, 0, v1
	s_wait_alu 0xf1ff
	v_cndmask_b32_e64 v1, 0, 1, s3
	s_delay_alu instid0(VALU_DEP_1) | instskip(SKIP_2) | instid1(VALU_DEP_3)
	v_and_or_b32 v1, 0xffe, v4, v1
	v_bfe_u32 v4, v5, 20, 11
	v_lshrrev_b32_e32 v5, 16, v5
	v_or_b32_e32 v24, 0x1000, v1
	s_delay_alu instid0(VALU_DEP_3) | instskip(SKIP_1) | instid1(VALU_DEP_2)
	v_sub_nc_u32_e32 v22, 0x3f1, v4
	v_add_nc_u32_e32 v4, 0xfffffc10, v4
	v_med3_i32 v22, v22, 0, 13
	s_delay_alu instid0(VALU_DEP_1) | instskip(NEXT) | instid1(VALU_DEP_1)
	v_lshrrev_b32_e32 v25, v22, v24
	v_lshlrev_b32_e32 v22, v22, v25
	s_delay_alu instid0(VALU_DEP_1) | instskip(SKIP_2) | instid1(VALU_DEP_2)
	v_cmp_ne_u32_e64 s3, v22, v24
	v_lshl_or_b32 v24, v4, 12, v1
	s_wait_alu 0xf1ff
	v_cndmask_b32_e64 v22, 0, 1, s3
	v_cmp_gt_i32_e64 s3, 1, v4
	s_delay_alu instid0(VALU_DEP_2) | instskip(SKIP_2) | instid1(VALU_DEP_2)
	v_or_b32_e32 v22, v25, v22
	v_lshrrev_b32_e32 v25, 16, v18
	s_wait_alu 0xf1ff
	v_cndmask_b32_e64 v22, v24, v22, s3
	s_delay_alu instid0(VALU_DEP_1) | instskip(NEXT) | instid1(VALU_DEP_1)
	v_and_b32_e32 v24, 7, v22
	v_cmp_lt_i32_e64 s3, 5, v24
	v_cmp_eq_u32_e64 s4, 3, v24
	s_wait_alu 0xfffd
	v_cndmask_b32_e64 v24, 0, 1, vcc_lo
	v_cmp_ne_u32_e32 vcc_lo, 0, v1
	v_add_nc_u32_e32 v1, 0xfffffc10, v20
	s_or_b32 s3, s4, s3
	s_delay_alu instid0(VALU_DEP_3) | instskip(SKIP_1) | instid1(VALU_DEP_3)
	v_or_b32_e32 v21, v21, v24
	v_cmp_ne_u32_e64 s4, 0, v19
	v_lshl_or_b32 v20, v1, 12, v19
	v_cmp_gt_i32_e64 s5, 1, v1
	s_wait_alu 0xf1ff
	s_delay_alu instid0(VALU_DEP_1)
	v_cndmask_b32_e64 v20, v20, v21, s5
	v_lshrrev_b32_e32 v21, 2, v22
	s_wait_alu 0xfffd
	v_cndmask_b32_e64 v22, 0, 1, vcc_lo
	v_cmp_eq_u32_e32 vcc_lo, 0x40f, v4
	v_lshrrev_b32_e32 v19, 2, v20
	s_wait_alu 0xfffe
	v_add_co_ci_u32_e64 v21, s3, 0, v21, s3
	v_cmp_gt_i32_e64 s3, 31, v4
	v_lshl_or_b32 v22, v22, 9, 0x7c00
	s_wait_alu 0xf1ff
	s_delay_alu instid0(VALU_DEP_2) | instskip(SKIP_1) | instid1(VALU_DEP_1)
	v_cndmask_b32_e64 v21, 0x7c00, v21, s3
	s_wait_alu 0xfffd
	v_dual_cndmask_b32 v4, v21, v22 :: v_dual_and_b32 v21, 7, v20
	v_cndmask_b32_e64 v20, 0, 1, s4
	s_delay_alu instid0(VALU_DEP_2) | instskip(NEXT) | instid1(VALU_DEP_3)
	v_and_or_b32 v4, 0x8000, v5, v4
	v_cmp_lt_i32_e32 vcc_lo, 5, v21
	v_cmp_eq_u32_e64 s3, 3, v21
	s_delay_alu instid0(VALU_DEP_4)
	v_lshl_or_b32 v20, v20, 9, 0x7c00
	ds_load_2addr_b32 v[21:22], v143 offset0:160 offset1:250
	v_and_b32_e32 v4, 0xffff, v4
	s_or_b32 vcc_lo, s3, vcc_lo
	s_wait_alu 0xfffe
	v_add_co_ci_u32_e32 v19, vcc_lo, 0, v19, vcc_lo
	v_cmp_gt_i32_e32 vcc_lo, 31, v1
	s_wait_alu 0xfffd
	s_delay_alu instid0(VALU_DEP_2) | instskip(SKIP_2) | instid1(VALU_DEP_2)
	v_cndmask_b32_e32 v19, 0x7c00, v19, vcc_lo
	v_cmp_eq_u32_e32 vcc_lo, 0x40f, v1
	s_wait_alu 0xfffd
	v_cndmask_b32_e32 v1, v19, v20, vcc_lo
	v_add_co_u32 v19, vcc_lo, v11, s14
	s_wait_dscnt 0x0
	v_lshrrev_b32_e32 v24, 16, v21
	s_wait_alu 0xfffd
	v_add_co_ci_u32_e32 v20, vcc_lo, s15, v12, vcc_lo
	v_and_or_b32 v1, 0x8000, v8, v1
	s_delay_alu instid0(VALU_DEP_1) | instskip(SKIP_2) | instid1(VALU_DEP_1)
	v_lshl_or_b32 v1, v1, 16, v4
	global_store_b32 v[11:12], v1, off
	v_mul_f16_e32 v1, v32, v21
	v_fma_f16 v1, v31, v24, -v1
	s_delay_alu instid0(VALU_DEP_1) | instskip(NEXT) | instid1(VALU_DEP_1)
	v_cvt_f32_f16_e32 v1, v1
	v_cvt_f64_f32_e32 v[4:5], v1
	s_delay_alu instid0(VALU_DEP_1) | instskip(NEXT) | instid1(VALU_DEP_1)
	v_mul_f64_e32 v[4:5], s[10:11], v[4:5]
	v_and_or_b32 v1, 0x1ff, v5, v4
	v_lshrrev_b32_e32 v4, 8, v5
	v_bfe_u32 v11, v5, 20, 11
	v_lshrrev_b32_e32 v5, 16, v5
	s_delay_alu instid0(VALU_DEP_4) | instskip(SKIP_2) | instid1(VALU_DEP_1)
	v_cmp_ne_u32_e32 vcc_lo, 0, v1
	s_wait_alu 0xfffd
	v_cndmask_b32_e64 v1, 0, 1, vcc_lo
	v_and_or_b32 v8, 0xffe, v4, v1
	v_sub_nc_u32_e32 v1, 0x3f1, v11
	s_delay_alu instid0(VALU_DEP_2) | instskip(NEXT) | instid1(VALU_DEP_2)
	v_or_b32_e32 v4, 0x1000, v8
	v_med3_i32 v1, v1, 0, 13
	s_delay_alu instid0(VALU_DEP_1) | instskip(NEXT) | instid1(VALU_DEP_1)
	v_lshrrev_b32_e32 v12, v1, v4
	v_lshlrev_b32_e32 v1, v1, v12
	s_delay_alu instid0(VALU_DEP_1) | instskip(SKIP_3) | instid1(VALU_DEP_1)
	v_cmp_ne_u32_e32 vcc_lo, v1, v4
	scratch_load_b32 v1, off, off offset:76 th:TH_LOAD_LU ; 4-byte Folded Reload
	s_wait_loadcnt 0x0
	v_mul_f16_e32 v26, v1, v25
	v_fmac_f16_e32 v26, v30, v18
	v_mul_f16_e32 v18, v1, v18
	v_cvt_f64_f32_e32 v[0:1], v0
	s_delay_alu instid0(VALU_DEP_1) | instskip(NEXT) | instid1(VALU_DEP_1)
	v_mul_f64_e32 v[0:1], s[10:11], v[0:1]
	v_and_or_b32 v0, 0x1ff, v1, v0
	v_lshrrev_b32_e32 v4, 8, v1
	s_delay_alu instid0(VALU_DEP_2) | instskip(SKIP_1) | instid1(VALU_DEP_1)
	v_cmp_ne_u32_e64 s3, 0, v0
	s_wait_alu 0xf1ff
	v_cndmask_b32_e64 v0, 0, 1, s3
	s_delay_alu instid0(VALU_DEP_1) | instskip(SKIP_2) | instid1(VALU_DEP_3)
	v_and_or_b32 v0, 0xffe, v4, v0
	v_bfe_u32 v4, v1, 20, 11
	v_lshrrev_b32_e32 v1, 16, v1
	v_or_b32_e32 v28, 0x1000, v0
	s_delay_alu instid0(VALU_DEP_3) | instskip(SKIP_2) | instid1(VALU_DEP_3)
	v_sub_nc_u32_e32 v27, 0x3f1, v4
	v_add_nc_u32_e32 v4, 0xfffffc10, v4
	v_cmp_ne_u32_e64 s4, 0, v0
	v_med3_i32 v27, v27, 0, 13
	s_delay_alu instid0(VALU_DEP_1) | instskip(NEXT) | instid1(VALU_DEP_1)
	v_lshrrev_b32_e32 v29, v27, v28
	v_lshlrev_b32_e32 v27, v27, v29
	s_delay_alu instid0(VALU_DEP_1) | instskip(SKIP_2) | instid1(VALU_DEP_2)
	v_cmp_ne_u32_e64 s3, v27, v28
	v_lshl_or_b32 v28, v4, 12, v0
	s_wait_alu 0xf1ff
	v_cndmask_b32_e64 v27, 0, 1, s3
	v_cmp_gt_i32_e64 s3, 1, v4
	s_delay_alu instid0(VALU_DEP_2) | instskip(SKIP_1) | instid1(VALU_DEP_1)
	v_or_b32_e32 v27, v29, v27
	s_wait_alu 0xf1ff
	v_cndmask_b32_e64 v27, v28, v27, s3
	v_cndmask_b32_e64 v28, 0, 1, s1
	v_cmp_gt_i32_e64 s1, 1, v15
	s_delay_alu instid0(VALU_DEP_2) | instskip(SKIP_2) | instid1(VALU_DEP_1)
	v_or_b32_e32 v16, v16, v28
	v_lshl_or_b32 v28, v15, 12, v14
	s_wait_alu 0xf1ff
	v_cndmask_b32_e64 v16, v28, v16, s1
	v_and_b32_e32 v28, 7, v27
	s_delay_alu instid0(VALU_DEP_2) | instskip(NEXT) | instid1(VALU_DEP_2)
	v_and_b32_e32 v0, 7, v16
	v_cmp_lt_i32_e64 s1, 5, v28
	v_cmp_eq_u32_e64 s3, 3, v28
	s_delay_alu instid0(VALU_DEP_3) | instskip(SKIP_2) | instid1(VALU_DEP_4)
	v_cmp_lt_i32_e64 s5, 5, v0
	v_cmp_eq_u32_e64 s6, 3, v0
	v_lshrrev_b32_e32 v0, 2, v27
	s_or_b32 s1, s3, s1
	v_cndmask_b32_e64 v27, 0, 1, s4
	s_delay_alu instid0(VALU_DEP_3)
	s_or_b32 s3, s6, s5
	s_wait_alu 0xfffe
	v_add_co_ci_u32_e64 v0, s1, 0, v0, s1
	v_cmp_gt_i32_e64 s1, 31, v4
	v_lshl_or_b32 v27, v27, 9, 0x7c00
	s_wait_alu 0xf1ff
	s_delay_alu instid0(VALU_DEP_2)
	v_cndmask_b32_e64 v0, 0x7c00, v0, s1
	v_cmp_eq_u32_e64 s1, 0x40f, v4
	v_lshrrev_b32_e32 v4, 2, v16
	scratch_load_b32 v16, off, off offset:64 th:TH_LOAD_LU ; 4-byte Folded Reload
	s_wait_alu 0xf1ff
	v_cndmask_b32_e64 v0, v0, v27, s1
	v_cmp_ne_u32_e64 s1, 0, v14
	v_add_co_ci_u32_e64 v4, s3, 0, v4, s3
	v_cmp_gt_i32_e64 s3, 31, v15
	s_delay_alu instid0(VALU_DEP_4)
	v_and_or_b32 v0, 0x8000, v1, v0
	s_wait_alu 0xf1ff
	v_cndmask_b32_e64 v14, 0, 1, s1
	v_cmp_eq_u32_e64 s1, 0x40f, v15
	scratch_load_b32 v15, off, off offset:68 th:TH_LOAD_LU ; 4-byte Folded Reload
	v_cndmask_b32_e64 v4, 0x7c00, v4, s3
	v_and_b32_e32 v0, 0xffff, v0
	v_lshl_or_b32 v14, v14, 9, 0x7c00
	s_wait_alu 0xf1ff
	s_delay_alu instid0(VALU_DEP_1) | instskip(SKIP_1) | instid1(VALU_DEP_2)
	v_cndmask_b32_e64 v4, v4, v14, s1
	v_mul_f16_e32 v14, v32, v24
	v_and_or_b32 v1, 0x8000, v7, v4
	s_delay_alu instid0(VALU_DEP_2)
	v_fmac_f16_e32 v14, v31, v21
	scratch_load_b32 v21, off, off offset:56 th:TH_LOAD_LU ; 4-byte Folded Reload
	v_lshl_or_b32 v0, v1, 16, v0
	global_store_b32 v[19:20], v0, off
	ds_load_2addr_b32 v[0:1], v174 offset0:36 offset1:126
	s_wait_dscnt 0x0
	v_lshrrev_b32_e32 v4, 16, v0
	s_wait_loadcnt 0x1
	v_mul_f16_e32 v7, v15, v0
	s_delay_alu instid0(VALU_DEP_2) | instskip(NEXT) | instid1(VALU_DEP_2)
	v_mul_f16_e32 v15, v15, v4
	v_fma_f16 v4, v16, v4, -v7
	s_delay_alu instid0(VALU_DEP_2) | instskip(SKIP_2) | instid1(VALU_DEP_4)
	v_fmac_f16_e32 v15, v16, v0
	v_cndmask_b32_e64 v0, 0, 1, s0
	v_add_nc_u32_e32 v7, 0xfffffc10, v9
	v_cvt_f32_f16_e32 v4, v4
	s_delay_alu instid0(VALU_DEP_3) | instskip(NEXT) | instid1(VALU_DEP_3)
	v_or_b32_e32 v0, v10, v0
	v_lshl_or_b32 v9, v7, 12, v3
	v_cmp_gt_i32_e64 s0, 1, v7
	v_add_nc_u32_e32 v10, 0xfffffc10, v17
	s_wait_alu 0xf1ff
	s_delay_alu instid0(VALU_DEP_2) | instskip(SKIP_1) | instid1(VALU_DEP_3)
	v_cndmask_b32_e64 v0, v9, v0, s0
	v_cndmask_b32_e64 v9, 0, 1, s2
	v_lshl_or_b32 v16, v10, 12, v13
	v_cmp_gt_i32_e64 s0, 1, v10
	v_cmp_ne_u32_e64 s2, 0, v3
	s_delay_alu instid0(VALU_DEP_4) | instskip(SKIP_1) | instid1(VALU_DEP_1)
	v_or_b32_e32 v9, v23, v9
	s_wait_alu 0xf1ff
	v_cndmask_b32_e64 v9, v16, v9, s0
	v_and_b32_e32 v16, 7, v0
	v_lshrrev_b32_e32 v0, 2, v0
	s_delay_alu instid0(VALU_DEP_3) | instskip(NEXT) | instid1(VALU_DEP_3)
	v_and_b32_e32 v3, 7, v9
	v_cmp_lt_i32_e64 s0, 5, v16
	v_cmp_eq_u32_e64 s1, 3, v16
	s_delay_alu instid0(VALU_DEP_3) | instskip(SKIP_1) | instid1(VALU_DEP_3)
	v_cmp_lt_i32_e64 s3, 5, v3
	v_cmp_eq_u32_e64 s4, 3, v3
	s_or_b32 s0, s1, s0
	v_cndmask_b32_e64 v3, 0, 1, s2
	s_wait_alu 0xfffe
	v_add_co_ci_u32_e64 v0, s0, 0, v0, s0
	v_cmp_gt_i32_e64 s0, 31, v7
	s_delay_alu instid0(VALU_DEP_3) | instskip(SKIP_1) | instid1(VALU_DEP_2)
	v_lshl_or_b32 v3, v3, 9, 0x7c00
	s_wait_alu 0xf1ff
	v_cndmask_b32_e64 v0, 0x7c00, v0, s0
	v_cmp_eq_u32_e64 s0, 0x40f, v7
	v_lshrrev_b32_e32 v7, 16, v2
	v_lshrrev_b32_e32 v2, 2, v9
	s_wait_alu 0xf1ff
	s_delay_alu instid0(VALU_DEP_3)
	v_cndmask_b32_e64 v0, v0, v3, s0
	s_or_b32 s0, s4, s3
	s_wait_alu 0xfffe
	v_add_co_ci_u32_e64 v2, s0, 0, v2, s0
	v_cmp_ne_u32_e64 s0, 0, v13
	v_and_or_b32 v0, 0x8000, v7, v0
	s_wait_alu 0xf1ff
	s_delay_alu instid0(VALU_DEP_2) | instskip(SKIP_1) | instid1(VALU_DEP_3)
	v_cndmask_b32_e64 v3, 0, 1, s0
	v_cmp_gt_i32_e64 s0, 31, v10
	v_and_b32_e32 v0, 0xffff, v0
	s_delay_alu instid0(VALU_DEP_3) | instskip(SKIP_1) | instid1(VALU_DEP_3)
	v_lshl_or_b32 v13, v3, 9, 0x7c00
	s_wait_alu 0xf1ff
	v_cndmask_b32_e64 v9, 0x7c00, v2, s0
	v_cvt_f64_f32_e32 v[2:3], v4
	v_cmp_eq_u32_e64 s0, 0x40f, v10
	v_cvt_f32_f16_e32 v4, v14
	s_wait_alu 0xf1ff
	s_delay_alu instid0(VALU_DEP_2) | instskip(NEXT) | instid1(VALU_DEP_2)
	v_cndmask_b32_e64 v16, v9, v13, s0
	v_cvt_f64_f32_e32 v[9:10], v4
	v_mul_f64_e32 v[13:14], s[10:11], v[2:3]
	v_cvt_f32_f16_e32 v2, v15
	v_lshrrev_b32_e32 v15, 16, v6
	v_add_co_u32 v3, s0, v19, s8
	s_wait_alu 0xf1ff
	v_add_co_ci_u32_e64 v4, s0, s9, v20, s0
	v_cvt_f64_f32_e32 v[6:7], v2
	v_and_or_b32 v2, 0x8000, v15, v16
	v_fma_f16 v15, v30, v25, -v18
	v_mul_f64_e32 v[9:10], s[10:11], v[9:10]
	v_lshrrev_b32_e32 v16, 16, v22
	s_delay_alu instid0(VALU_DEP_4) | instskip(NEXT) | instid1(VALU_DEP_4)
	v_lshl_or_b32 v0, v2, 16, v0
	v_cvt_f32_f16_e32 v15, v15
	global_store_b32 v[3:4], v0, off
	v_and_or_b32 v13, 0x1ff, v14, v13
	v_bfe_u32 v17, v14, 20, 11
	s_delay_alu instid0(VALU_DEP_2) | instskip(SKIP_3) | instid1(VALU_DEP_3)
	v_cmp_ne_u32_e64 s0, 0, v13
	v_lshrrev_b32_e32 v13, 8, v14
	v_mul_f64_e32 v[6:7], s[10:11], v[6:7]
	s_wait_alu 0xf1ff
	v_cndmask_b32_e64 v2, 0, 1, s0
	v_add_co_u32 v3, s0, v3, s14
	s_wait_alu 0xf1ff
	v_add_co_ci_u32_e64 v4, s0, s15, v4, s0
	s_delay_alu instid0(VALU_DEP_3) | instskip(SKIP_4) | instid1(VALU_DEP_4)
	v_and_or_b32 v2, 0xffe, v13, v2
	v_sub_nc_u32_e32 v13, 0x3f1, v17
	v_lshrrev_b32_e32 v19, 8, v10
	v_bfe_u32 v20, v10, 20, 11
	v_add_nc_u32_e32 v17, 0xfffffc10, v17
	v_med3_i32 v0, v13, 0, 13
	v_or_b32_e32 v13, 0x1000, v2
	s_delay_alu instid0(VALU_DEP_1) | instskip(NEXT) | instid1(VALU_DEP_1)
	v_lshrrev_b32_e32 v18, v0, v13
	v_lshlrev_b32_e32 v0, v0, v18
	s_delay_alu instid0(VALU_DEP_1) | instskip(SKIP_3) | instid1(VALU_DEP_2)
	v_cmp_ne_u32_e64 s0, v0, v13
	scratch_load_b32 v13, off, off offset:60 th:TH_LOAD_LU ; 4-byte Folded Reload
	v_and_or_b32 v0, 0x1ff, v10, v9
	v_lshrrev_b32_e32 v10, 16, v10
	v_cmp_ne_u32_e64 s1, 0, v0
	v_and_or_b32 v6, 0x1ff, v7, v6
	v_lshrrev_b32_e32 v23, 16, v7
	s_wait_alu 0xf1ff
	s_delay_alu instid0(VALU_DEP_3) | instskip(NEXT) | instid1(VALU_DEP_1)
	v_cndmask_b32_e64 v0, 0, 1, s1
	v_and_or_b32 v0, 0xffe, v19, v0
	v_sub_nc_u32_e32 v19, 0x3f1, v20
	s_delay_alu instid0(VALU_DEP_1) | instskip(SKIP_3) | instid1(VALU_DEP_2)
	v_med3_i32 v19, v19, 0, 13
	s_wait_loadcnt 0x0
	v_mul_f16_e32 v9, v13, v16
	v_mul_f16_e32 v13, v13, v22
	v_fmac_f16_e32 v9, v21, v22
	s_delay_alu instid0(VALU_DEP_2) | instskip(SKIP_1) | instid1(VALU_DEP_3)
	v_fma_f16 v13, v21, v16, -v13
	v_or_b32_e32 v16, 0x1000, v0
	v_cvt_f32_f16_e32 v9, v9
	s_delay_alu instid0(VALU_DEP_3) | instskip(NEXT) | instid1(VALU_DEP_3)
	v_cvt_f32_f16_e32 v13, v13
	v_lshrrev_b32_e32 v21, v19, v16
	s_delay_alu instid0(VALU_DEP_1) | instskip(NEXT) | instid1(VALU_DEP_1)
	v_lshlrev_b32_e32 v19, v19, v21
	v_cmp_ne_u32_e64 s1, v19, v16
	v_add_nc_u32_e32 v19, 0xfffffc10, v20
	s_wait_alu 0xf1ff
	s_delay_alu instid0(VALU_DEP_2) | instskip(SKIP_1) | instid1(VALU_DEP_3)
	v_cndmask_b32_e64 v16, 0, 1, s1
	v_cmp_ne_u32_e64 s1, 0, v6
	v_lshl_or_b32 v20, v19, 12, v0
	s_delay_alu instid0(VALU_DEP_3) | instskip(SKIP_1) | instid1(VALU_DEP_3)
	v_or_b32_e32 v16, v21, v16
	s_wait_alu 0xf1ff
	v_cndmask_b32_e64 v6, 0, 1, s1
	v_cmp_gt_i32_e64 s1, 1, v19
	v_add_nc_u32_e32 v21, 0xfffffc10, v11
	s_wait_alu 0xf1ff
	s_delay_alu instid0(VALU_DEP_2) | instskip(SKIP_1) | instid1(VALU_DEP_1)
	v_cndmask_b32_e64 v16, v20, v16, s1
	v_lshrrev_b32_e32 v20, 8, v7
	v_and_or_b32 v6, 0xffe, v20, v6
	s_delay_alu instid0(VALU_DEP_3) | instskip(SKIP_1) | instid1(VALU_DEP_2)
	v_and_b32_e32 v20, 7, v16
	v_lshrrev_b32_e32 v16, 2, v16
	v_cmp_lt_i32_e64 s1, 5, v20
	v_cmp_eq_u32_e64 s2, 3, v20
	s_wait_alu 0xfffd
	v_cndmask_b32_e64 v20, 0, 1, vcc_lo
	v_cmp_gt_i32_e32 vcc_lo, 1, v21
	s_delay_alu instid0(VALU_DEP_2) | instskip(SKIP_3) | instid1(VALU_DEP_2)
	v_or_b32_e32 v11, v12, v20
	v_lshl_or_b32 v12, v21, 12, v8
	v_cvt_f32_f16_e32 v20, v26
	s_wait_alu 0xfffd
	v_cndmask_b32_e32 v22, v12, v11, vcc_lo
	s_or_b32 vcc_lo, s2, s1
	s_delay_alu instid0(VALU_DEP_2)
	v_cvt_f64_f32_e32 v[11:12], v20
	s_wait_alu 0xfffe
	v_add_co_ci_u32_e32 v16, vcc_lo, 0, v16, vcc_lo
	v_cmp_ne_u32_e32 vcc_lo, 0, v0
	s_wait_alu 0xfffd
	v_cndmask_b32_e64 v0, 0, 1, vcc_lo
	v_cmp_gt_i32_e32 vcc_lo, 31, v19
	s_delay_alu instid0(VALU_DEP_2)
	v_lshl_or_b32 v0, v0, 9, 0x7c00
	s_wait_alu 0xfffd
	v_cndmask_b32_e32 v20, 0x7c00, v16, vcc_lo
	v_cvt_f64_f32_e32 v[15:16], v15
	v_cmp_eq_u32_e32 vcc_lo, 0x40f, v19
	s_wait_alu 0xfffd
	s_delay_alu instid0(VALU_DEP_3) | instskip(NEXT) | instid1(VALU_DEP_1)
	v_dual_cndmask_b32 v0, v20, v0 :: v_dual_and_b32 v19, 7, v22
	v_cmp_lt_i32_e32 vcc_lo, 5, v19
	v_cmp_eq_u32_e64 s1, 3, v19
	v_lshrrev_b32_e32 v20, 2, v22
	v_bfe_u32 v19, v7, 20, 11
	v_and_or_b32 v0, 0x8000, v10, v0
	s_delay_alu instid0(VALU_DEP_4)
	s_or_b32 vcc_lo, s1, vcc_lo
	s_wait_alu 0xfffe
	v_add_co_ci_u32_e32 v20, vcc_lo, 0, v20, vcc_lo
	v_cmp_ne_u32_e32 vcc_lo, 0, v8
	v_sub_nc_u32_e32 v22, 0x3f1, v19
	v_add_nc_u32_e32 v19, 0xfffffc10, v19
	v_and_b32_e32 v0, 0xffff, v0
	s_wait_alu 0xfffd
	v_cndmask_b32_e64 v8, 0, 1, vcc_lo
	v_mul_f64_e32 v[11:12], s[10:11], v[11:12]
	v_cmp_gt_i32_e32 vcc_lo, 31, v21
	v_med3_i32 v22, v22, 0, 13
	s_delay_alu instid0(VALU_DEP_4)
	v_lshl_or_b32 v8, v8, 9, 0x7c00
	s_wait_alu 0xfffd
	v_cndmask_b32_e32 v20, 0x7c00, v20, vcc_lo
	v_cmp_eq_u32_e32 vcc_lo, 0x40f, v21
	v_or_b32_e32 v21, 0x1000, v6
	s_wait_alu 0xfffd
	s_delay_alu instid0(VALU_DEP_3) | instskip(NEXT) | instid1(VALU_DEP_2)
	v_cndmask_b32_e32 v8, v20, v8, vcc_lo
	v_lshrrev_b32_e32 v20, v22, v21
	v_mul_f64_e32 v[15:16], s[10:11], v[15:16]
	s_delay_alu instid0(VALU_DEP_3) | instskip(NEXT) | instid1(VALU_DEP_3)
	v_and_or_b32 v5, 0x8000, v5, v8
	v_lshlrev_b32_e32 v22, v22, v20
	v_lshl_or_b32 v8, v19, 12, v6
	s_delay_alu instid0(VALU_DEP_3) | instskip(SKIP_3) | instid1(VALU_DEP_1)
	v_lshl_or_b32 v0, v5, 16, v0
	v_cndmask_b32_e64 v5, 0, 1, s0
	global_store_b32 v[3:4], v0, off
	v_and_or_b32 v11, 0x1ff, v12, v11
	v_cmp_ne_u32_e32 vcc_lo, 0, v11
	s_wait_alu 0xfffd
	v_cndmask_b32_e64 v11, 0, 1, vcc_lo
	v_cmp_ne_u32_e32 vcc_lo, v22, v21
	v_lshrrev_b32_e32 v22, 8, v12
	v_and_or_b32 v10, 0x1ff, v16, v15
	s_wait_alu 0xfffd
	v_cndmask_b32_e64 v21, 0, 1, vcc_lo
	s_delay_alu instid0(VALU_DEP_3) | instskip(NEXT) | instid1(VALU_DEP_3)
	v_and_or_b32 v11, 0xffe, v22, v11
	v_cmp_ne_u32_e32 vcc_lo, 0, v10
	s_delay_alu instid0(VALU_DEP_3) | instskip(SKIP_4) | instid1(VALU_DEP_3)
	v_or_b32_e32 v15, v20, v21
	v_bfe_u32 v20, v12, 20, 11
	s_wait_alu 0xfffd
	v_cndmask_b32_e64 v10, 0, 1, vcc_lo
	v_cmp_gt_i32_e32 vcc_lo, 1, v19
	v_sub_nc_u32_e32 v21, 0x3f1, v20
	v_add_nc_u32_e32 v20, 0xfffffc10, v20
	s_wait_alu 0xfffd
	v_cndmask_b32_e32 v8, v8, v15, vcc_lo
	v_lshrrev_b32_e32 v15, 8, v16
	v_med3_i32 v21, v21, 0, 13
	s_delay_alu instid0(VALU_DEP_2) | instskip(NEXT) | instid1(VALU_DEP_4)
	v_and_or_b32 v15, 0xffe, v15, v10
	v_and_b32_e32 v10, 7, v8
	s_delay_alu instid0(VALU_DEP_1) | instskip(SKIP_4) | instid1(VALU_DEP_4)
	v_cmp_lt_i32_e32 vcc_lo, 5, v10
	v_cmp_eq_u32_e64 s0, 3, v10
	v_or_b32_e32 v10, v18, v5
	v_lshrrev_b32_e32 v5, 2, v8
	v_lshl_or_b32 v8, v17, 12, v2
	s_or_b32 vcc_lo, s0, vcc_lo
	s_wait_alu 0xfffe
	s_delay_alu instid0(VALU_DEP_2)
	v_add_co_ci_u32_e32 v18, vcc_lo, 0, v5, vcc_lo
	v_cmp_ne_u32_e32 vcc_lo, 0, v6
	v_cvt_f64_f32_e32 v[5:6], v9
	s_wait_alu 0xfffd
	v_cndmask_b32_e64 v22, 0, 1, vcc_lo
	v_cmp_gt_i32_e32 vcc_lo, 1, v17
	s_wait_alu 0xfffd
	v_cndmask_b32_e32 v9, v8, v10, vcc_lo
	v_or_b32_e32 v8, 0x1000, v11
	v_cmp_gt_i32_e32 vcc_lo, 31, v19
	s_wait_alu 0xfffd
	v_cndmask_b32_e32 v10, 0x7c00, v18, vcc_lo
	v_cmp_eq_u32_e32 vcc_lo, 0x40f, v19
	v_lshrrev_b32_e32 v19, v21, v8
	v_lshl_or_b32 v18, v22, 9, 0x7c00
	s_wait_alu 0xfffd
	s_delay_alu instid0(VALU_DEP_1) | instskip(SKIP_2) | instid1(VALU_DEP_3)
	v_dual_cndmask_b32 v10, v10, v18 :: v_dual_lshlrev_b32 v21, v21, v19
	v_and_b32_e32 v18, 7, v9
	v_lshrrev_b32_e32 v9, 2, v9
	v_cmp_ne_u32_e64 s1, v21, v8
	v_cvt_f64_f32_e32 v[7:8], v13
	s_delay_alu instid0(VALU_DEP_4)
	v_cmp_lt_i32_e32 vcc_lo, 5, v18
	v_cmp_eq_u32_e64 s0, 3, v18
	v_bfe_u32 v18, v16, 20, 11
	s_wait_alu 0xf1ff
	v_cndmask_b32_e64 v21, 0, 1, s1
	v_cmp_gt_i32_e64 s1, 1, v20
	v_and_or_b32 v10, 0x8000, v23, v10
	s_or_b32 vcc_lo, s0, vcc_lo
	v_sub_nc_u32_e32 v22, 0x3f1, v18
	s_wait_alu 0xfffe
	v_add_co_ci_u32_e32 v9, vcc_lo, 0, v9, vcc_lo
	v_or_b32_e32 v13, v19, v21
	v_lshl_or_b32 v19, v20, 12, v11
	v_cmp_ne_u32_e32 vcc_lo, 0, v2
	v_med3_i32 v21, v22, 0, 13
	scratch_load_b32 v22, off, off offset:48 th:TH_LOAD_LU ; 4-byte Folded Reload
	v_mul_f64_e32 v[5:6], s[10:11], v[5:6]
	v_cndmask_b32_e64 v13, v19, v13, s1
	s_wait_alu 0xfffd
	v_cndmask_b32_e64 v2, 0, 1, vcc_lo
	v_or_b32_e32 v19, 0x1000, v15
	v_cmp_gt_i32_e32 vcc_lo, 31, v17
	v_and_b32_e32 v10, 0xffff, v10
	v_and_b32_e32 v0, 7, v13
	v_lshl_or_b32 v2, v2, 9, 0x7c00
	v_lshrrev_b32_e32 v13, 2, v13
	s_wait_alu 0xfffd
	v_cndmask_b32_e32 v9, 0x7c00, v9, vcc_lo
	v_cmp_eq_u32_e32 vcc_lo, 0x40f, v17
	v_lshrrev_b32_e32 v17, v21, v19
	v_cmp_eq_u32_e64 s0, 3, v0
	s_wait_alu 0xfffd
	v_cndmask_b32_e32 v2, v9, v2, vcc_lo
	s_delay_alu instid0(VALU_DEP_3) | instskip(SKIP_1) | instid1(VALU_DEP_2)
	v_lshlrev_b32_e32 v21, v21, v17
	v_lshrrev_b32_e32 v9, 16, v14
	v_cmp_ne_u32_e32 vcc_lo, v21, v19
	scratch_load_b32 v21, off, off offset:52 th:TH_LOAD_LU ; 4-byte Folded Reload
	v_and_or_b32 v2, 0x8000, v9, v2
	v_mul_f64_e32 v[7:8], s[10:11], v[7:8]
	s_wait_alu 0xfffd
	v_cndmask_b32_e64 v14, 0, 1, vcc_lo
	v_cmp_lt_i32_e32 vcc_lo, 5, v0
	v_add_nc_u32_e32 v0, 0xfffffc10, v18
	v_lshl_or_b32 v18, v2, 16, v10
	s_delay_alu instid0(VALU_DEP_4) | instskip(SKIP_1) | instid1(VALU_DEP_3)
	v_or_b32_e32 v9, v17, v14
	s_or_b32 vcc_lo, s0, vcc_lo
	v_lshl_or_b32 v14, v0, 12, v15
	s_wait_alu 0xfffe
	v_add_co_ci_u32_e32 v13, vcc_lo, 0, v13, vcc_lo
	v_cmp_gt_i32_e32 vcc_lo, 1, v0
	v_lshrrev_b32_e32 v17, 16, v1
	v_and_or_b32 v2, 0x1ff, v6, v5
	s_wait_alu 0xfffd
	v_cndmask_b32_e32 v14, v14, v9, vcc_lo
	v_cmp_ne_u32_e32 vcc_lo, 0, v11
	s_wait_alu 0xfffd
	v_cndmask_b32_e64 v11, 0, 1, vcc_lo
	v_cmp_gt_i32_e32 vcc_lo, 31, v20
	s_delay_alu instid0(VALU_DEP_2)
	v_lshl_or_b32 v10, v11, 9, 0x7c00
	s_wait_alu 0xfffd
	v_cndmask_b32_e32 v5, 0x7c00, v13, vcc_lo
	v_cmp_ne_u32_e32 vcc_lo, 0, v2
	v_lshrrev_b32_e32 v11, 8, v6
	v_bfe_u32 v13, v6, 20, 11
	v_lshrrev_b32_e32 v6, 16, v6
	s_wait_alu 0xfffd
	v_cndmask_b32_e64 v2, 0, 1, vcc_lo
	v_cmp_eq_u32_e32 vcc_lo, 0x40f, v20
	v_lshrrev_b32_e32 v20, 16, v12
	v_and_or_b32 v7, 0x1ff, v8, v7
	v_lshrrev_b32_e32 v12, 8, v8
	v_and_or_b32 v19, 0xffe, v11, v2
	v_and_b32_e32 v11, 7, v14
	s_wait_alu 0xfffd
	v_cndmask_b32_e32 v5, v5, v10, vcc_lo
	v_sub_nc_u32_e32 v2, 0x3f1, v13
	s_delay_alu instid0(VALU_DEP_3) | instskip(SKIP_2) | instid1(VALU_DEP_4)
	v_cmp_lt_i32_e32 vcc_lo, 5, v11
	v_cmp_eq_u32_e64 s0, 3, v11
	v_lshrrev_b32_e32 v11, 2, v14
	v_med3_i32 v2, v2, 0, 13
	v_and_or_b32 v5, 0x8000, v20, v5
	s_delay_alu instid0(VALU_DEP_4)
	s_or_b32 vcc_lo, s0, vcc_lo
	s_wait_alu 0xfffe
	v_add_co_ci_u32_e32 v11, vcc_lo, 0, v11, vcc_lo
	v_cmp_ne_u32_e32 vcc_lo, 0, v15
	v_and_b32_e32 v5, 0xffff, v5
	s_wait_alu 0xfffd
	v_cndmask_b32_e64 v15, 0, 1, vcc_lo
	v_cmp_ne_u32_e32 vcc_lo, 0, v7
	s_wait_alu 0xfffd
	v_cndmask_b32_e64 v7, 0, 1, vcc_lo
	v_cmp_gt_i32_e32 vcc_lo, 31, v0
	s_delay_alu instid0(VALU_DEP_2) | instskip(SKIP_2) | instid1(VALU_DEP_1)
	v_and_or_b32 v7, 0xffe, v12, v7
	s_wait_loadcnt 0x0
	v_mul_f16_e32 v9, v21, v17
	v_fmac_f16_e32 v9, v22, v1
	v_mul_f16_e32 v1, v21, v1
	v_or_b32_e32 v21, 0x1000, v19
	s_delay_alu instid0(VALU_DEP_3) | instskip(NEXT) | instid1(VALU_DEP_3)
	v_cvt_f32_f16_e32 v9, v9
	v_fma_f16 v1, v22, v17, -v1
	s_delay_alu instid0(VALU_DEP_3)
	v_lshrrev_b32_e32 v14, v2, v21
	s_wait_alu 0xfffd
	v_cndmask_b32_e32 v22, 0x7c00, v11, vcc_lo
	v_bfe_u32 v17, v8, 20, 11
	v_cvt_f64_f32_e32 v[9:10], v9
	v_cvt_f32_f16_e32 v1, v1
	v_lshlrev_b32_e32 v2, v2, v14
	s_delay_alu instid0(VALU_DEP_2) | instskip(NEXT) | instid1(VALU_DEP_2)
	v_cvt_f64_f32_e32 v[11:12], v1
	v_cmp_ne_u32_e32 vcc_lo, v2, v21
	v_add_nc_u32_e32 v21, 0xfffffc10, v13
	v_sub_nc_u32_e32 v2, 0x3f1, v17
	v_lshl_or_b32 v13, v15, 9, 0x7c00
	v_or_b32_e32 v15, 0x1000, v7
	s_wait_alu 0xfffd
	v_cndmask_b32_e64 v1, 0, 1, vcc_lo
	v_lshl_or_b32 v23, v21, 12, v19
	v_cmp_gt_i32_e32 vcc_lo, 1, v21
	v_med3_i32 v24, v2, 0, 13
	s_delay_alu instid0(VALU_DEP_4)
	v_or_b32_e32 v14, v14, v1
	ds_load_2addr_b32 v[1:2], v165 offset0:80 offset1:170
	s_wait_alu 0xfffd
	v_cndmask_b32_e32 v14, v23, v14, vcc_lo
	v_cmp_eq_u32_e32 vcc_lo, 0x40f, v0
	s_wait_alu 0xfffd
	v_cndmask_b32_e32 v0, v22, v13, vcc_lo
	v_lshrrev_b32_e32 v13, 16, v16
	v_lshrrev_b32_e32 v16, v24, v15
	v_and_b32_e32 v22, 7, v14
	v_add_co_u32 v3, vcc_lo, v3, s14
	s_wait_alu 0xfffd
	v_add_co_ci_u32_e32 v4, vcc_lo, s15, v4, vcc_lo
	v_lshlrev_b32_e32 v23, v24, v16
	scratch_load_b32 v24, off, off offset:44 th:TH_LOAD_LU ; 4-byte Folded Reload
	v_mul_f64_e32 v[9:10], s[10:11], v[9:10]
	v_cmp_lt_i32_e32 vcc_lo, 5, v22
	v_cmp_eq_u32_e64 s0, 3, v22
	v_cmp_ne_u32_e64 s1, v23, v15
	scratch_load_b32 v23, off, off offset:40 th:TH_LOAD_LU ; 4-byte Folded Reload
	v_and_or_b32 v0, 0x8000, v13, v0
	v_lshrrev_b32_e32 v13, 2, v14
	v_add_nc_u32_e32 v15, 0xfffffc10, v17
	s_wait_alu 0xf1ff
	v_cndmask_b32_e64 v14, 0, 1, s1
	s_or_b32 vcc_lo, s0, vcc_lo
	s_wait_dscnt 0x0
	v_lshrrev_b32_e32 v17, 16, v1
	s_wait_alu 0xfffe
	v_add_co_ci_u32_e32 v13, vcc_lo, 0, v13, vcc_lo
	v_or_b32_e32 v14, v16, v14
	v_lshl_or_b32 v16, v15, 12, v7
	v_cmp_gt_i32_e32 vcc_lo, 1, v15
	v_mul_f64_e32 v[11:12], s[10:11], v[11:12]
	v_lshl_or_b32 v22, v0, 16, v5
	s_wait_alu 0xfffd
	v_cndmask_b32_e32 v16, v16, v14, vcc_lo
	v_cmp_ne_u32_e32 vcc_lo, 0, v19
	s_delay_alu instid0(VALU_DEP_2) | instskip(SKIP_3) | instid1(VALU_DEP_3)
	v_and_b32_e32 v0, 7, v16
	s_wait_alu 0xfffd
	v_cndmask_b32_e64 v14, 0, 1, vcc_lo
	v_cmp_gt_i32_e32 vcc_lo, 31, v21
	v_cmp_eq_u32_e64 s0, 3, v0
	s_wait_alu 0xfffd
	v_cndmask_b32_e32 v19, 0x7c00, v13, vcc_lo
	v_cmp_eq_u32_e32 vcc_lo, 0x40f, v21
	v_and_or_b32 v9, 0x1ff, v10, v9
	v_lshrrev_b32_e32 v21, 8, v12
	s_wait_loadcnt 0x1
	v_mul_f16_e32 v20, v24, v17
	s_wait_loadcnt 0x0
	s_delay_alu instid0(VALU_DEP_1) | instskip(SKIP_2) | instid1(VALU_DEP_3)
	v_fmac_f16_e32 v20, v23, v1
	v_mul_f16_e32 v1, v24, v1
	v_lshrrev_b32_e32 v24, 16, v8
	v_cvt_f32_f16_e32 v13, v20
	v_lshl_or_b32 v20, v14, 9, 0x7c00
	s_delay_alu instid0(VALU_DEP_4) | instskip(SKIP_1) | instid1(VALU_DEP_4)
	v_fma_f16 v1, v23, v17, -v1
	v_bfe_u32 v23, v12, 20, 11
	v_cvt_f64_f32_e32 v[13:14], v13
	s_wait_alu 0xfffd
	v_cndmask_b32_e32 v5, v19, v20, vcc_lo
	v_cmp_ne_u32_e32 vcc_lo, 0, v9
	v_lshrrev_b32_e32 v19, 8, v10
	v_bfe_u32 v20, v10, 20, 11
	v_cvt_f32_f16_e32 v1, v1
	s_wait_alu 0xfffd
	v_cndmask_b32_e64 v9, 0, 1, vcc_lo
	v_cmp_lt_i32_e32 vcc_lo, 5, v0
	v_sub_nc_u32_e32 v0, 0x3f1, v20
	v_add_nc_u32_e32 v20, 0xfffffc10, v20
	s_delay_alu instid0(VALU_DEP_4)
	v_and_or_b32 v9, 0xffe, v19, v9
	v_and_or_b32 v19, 0x8000, v6, v5
	v_lshrrev_b32_e32 v5, 2, v16
	s_or_b32 vcc_lo, s0, vcc_lo
	v_med3_i32 v0, v0, 0, 13
	v_or_b32_e32 v16, 0x1000, v9
	v_and_b32_e32 v19, 0xffff, v19
	s_wait_alu 0xfffe
	v_add_co_ci_u32_e32 v5, vcc_lo, 0, v5, vcc_lo
	v_cmp_ne_u32_e32 vcc_lo, 0, v7
	v_and_or_b32 v7, 0x1ff, v12, v11
	v_lshrrev_b32_e32 v17, v0, v16
	v_lshrrev_b32_e32 v12, 16, v12
	s_wait_alu 0xfffd
	v_cndmask_b32_e64 v6, 0, 1, vcc_lo
	v_cmp_gt_i32_e32 vcc_lo, 31, v15
	v_lshlrev_b32_e32 v0, v0, v17
	s_delay_alu instid0(VALU_DEP_3) | instskip(SKIP_4) | instid1(VALU_DEP_2)
	v_lshl_or_b32 v6, v6, 9, 0x7c00
	s_wait_alu 0xfffd
	v_cndmask_b32_e32 v5, 0x7c00, v5, vcc_lo
	v_cmp_eq_u32_e32 vcc_lo, 0x40f, v15
	s_wait_alu 0xfffd
	v_cndmask_b32_e32 v11, v5, v6, vcc_lo
	v_cmp_ne_u32_e32 vcc_lo, 0, v7
	v_mul_f64_e32 v[7:8], s[10:11], v[13:14]
	v_sub_nc_u32_e32 v13, 0x3f1, v23
	v_cvt_f64_f32_e32 v[5:6], v1
	v_and_or_b32 v11, 0x8000, v24, v11
	s_wait_alu 0xfffd
	v_cndmask_b32_e64 v15, 0, 1, vcc_lo
	v_cmp_ne_u32_e32 vcc_lo, v0, v16
	v_med3_i32 v25, v13, 0, 13
	ds_load_2addr_b32 v[0:1], v172 offset0:84 offset1:174
	v_lshl_or_b32 v11, v11, 16, v19
	v_and_or_b32 v15, 0xffe, v21, v15
	s_wait_alu 0xfffd
	v_cndmask_b32_e64 v16, 0, 1, vcc_lo
	v_add_co_u32 v13, vcc_lo, v3, s8
	s_wait_alu 0xfffd
	v_add_co_ci_u32_e32 v14, vcc_lo, s9, v4, vcc_lo
	v_or_b32_e32 v21, 0x1000, v15
	global_store_b32 v[3:4], v18, off
	global_store_b32 v[13:14], v22, off
	v_add_nc_u32_e32 v19, 0xfffffc10, v23
	s_clause 0x1
	scratch_load_b32 v23, off, off offset:32 th:TH_LOAD_LU
	scratch_load_b32 v26, off, off offset:28 th:TH_LOAD_LU
	v_lshrrev_b32_e32 v24, v25, v21
	v_or_b32_e32 v16, v17, v16
	v_lshl_or_b32 v17, v20, 12, v9
	v_cmp_gt_i32_e32 vcc_lo, 1, v20
	v_cmp_gt_i32_e64 s1, 1, v19
	v_lshlrev_b32_e32 v3, v25, v24
	s_clause 0x1
	scratch_load_b32 v25, off, off offset:36 th:TH_LOAD_LU
	scratch_load_b32 v28, off, off offset:12 th:TH_LOAD_LU
	s_wait_alu 0xfffd
	v_cndmask_b32_e32 v16, v17, v16, vcc_lo
	s_wait_dscnt 0x0
	v_lshrrev_b32_e32 v17, 16, v0
	v_cmp_ne_u32_e64 s0, v3, v21
	v_add_co_u32 v13, vcc_lo, v13, s14
	v_and_b32_e32 v4, 7, v16
	s_wait_alu 0xfffd
	v_add_co_ci_u32_e32 v14, vcc_lo, s15, v14, vcc_lo
	s_wait_alu 0xf1ff
	v_cndmask_b32_e64 v3, 0, 1, s0
	v_and_or_b32 v7, 0x1ff, v8, v7
	v_cmp_lt_i32_e32 vcc_lo, 5, v4
	v_cmp_eq_u32_e64 s0, 3, v4
	v_mul_f64_e32 v[4:5], s[10:11], v[5:6]
	v_or_b32_e32 v3, v24, v3
	v_lshl_or_b32 v6, v19, 12, v15
	v_lshrrev_b32_e32 v16, 2, v16
	v_lshrrev_b32_e32 v22, 8, v8
	s_or_b32 vcc_lo, s0, vcc_lo
	global_store_b32 v[13:14], v11, off
	v_cndmask_b32_e64 v3, v6, v3, s1
	v_cmp_ne_u32_e64 s1, 0, v7
	s_wait_alu 0xfffe
	v_add_co_ci_u32_e32 v16, vcc_lo, 0, v16, vcc_lo
	v_cmp_ne_u32_e32 vcc_lo, 0, v9
	s_wait_alu 0xf1ff
	v_cndmask_b32_e64 v21, 0, 1, s1
	v_cmp_gt_i32_e64 s1, 31, v20
	s_wait_alu 0xfffd
	v_cndmask_b32_e64 v9, 0, 1, vcc_lo
	s_delay_alu instid0(VALU_DEP_3)
	v_and_or_b32 v21, 0xffe, v22, v21
	v_and_b32_e32 v22, 7, v3
	v_lshrrev_b32_e32 v3, 2, v3
	s_wait_alu 0xf1ff
	v_cndmask_b32_e64 v16, 0x7c00, v16, s1
	v_lshl_or_b32 v9, v9, 9, 0x7c00
	v_cmp_lt_i32_e32 vcc_lo, 5, v22
	v_cmp_eq_u32_e64 s0, 3, v22
	v_or_b32_e32 v22, 0x1000, v21
	s_delay_alu instid0(VALU_DEP_2)
	s_or_b32 vcc_lo, s0, vcc_lo
	s_wait_alu 0xfffe
	v_add_co_ci_u32_e32 v3, vcc_lo, 0, v3, vcc_lo
	v_cmp_eq_u32_e32 vcc_lo, 0x40f, v20
	v_lshrrev_b32_e32 v20, 16, v10
	v_and_or_b32 v4, 0x1ff, v5, v4
	s_wait_alu 0xfffd
	v_cndmask_b32_e32 v16, v16, v9, vcc_lo
	v_cmp_gt_i32_e32 vcc_lo, 31, v19
	s_delay_alu instid0(VALU_DEP_2) | instskip(NEXT) | instid1(VALU_DEP_1)
	v_and_or_b32 v16, 0x8000, v20, v16
	v_and_b32_e32 v16, 0xffff, v16
	s_wait_loadcnt 0x1
	v_mul_f16_e32 v18, v25, v17
	s_delay_alu instid0(VALU_DEP_1) | instskip(SKIP_1) | instid1(VALU_DEP_2)
	v_fmac_f16_e32 v18, v23, v0
	v_mul_f16_e32 v0, v25, v0
	v_cvt_f32_f16_e32 v18, v18
	s_delay_alu instid0(VALU_DEP_2) | instskip(NEXT) | instid1(VALU_DEP_2)
	v_fma_f16 v0, v23, v17, -v0
	v_cvt_f64_f32_e32 v[6:7], v18
	v_bfe_u32 v18, v8, 20, 11
	s_delay_alu instid0(VALU_DEP_3) | instskip(NEXT) | instid1(VALU_DEP_2)
	v_cvt_f32_f16_e32 v0, v0
	v_sub_nc_u32_e32 v17, 0x3f1, v18
	s_delay_alu instid0(VALU_DEP_2) | instskip(SKIP_4) | instid1(VALU_DEP_1)
	v_cvt_f64_f32_e32 v[9:10], v0
	s_wait_alu 0xfffd
	v_cndmask_b32_e32 v0, 0x7c00, v3, vcc_lo
	v_add_nc_u32_e32 v18, 0xfffffc10, v18
	v_med3_i32 v17, v17, 0, 13
	v_lshrrev_b32_e32 v23, v17, v22
	s_delay_alu instid0(VALU_DEP_1) | instskip(NEXT) | instid1(VALU_DEP_1)
	v_lshlrev_b32_e32 v17, v17, v23
	v_cmp_ne_u32_e32 vcc_lo, v17, v22
	v_lshrrev_b32_e32 v17, 8, v5
	v_bfe_u32 v22, v5, 20, 11
	v_lshrrev_b32_e32 v5, 16, v5
	s_wait_alu 0xfffd
	v_cndmask_b32_e64 v3, 0, 1, vcc_lo
	v_cmp_ne_u32_e32 vcc_lo, 0, v4
	s_delay_alu instid0(VALU_DEP_2)
	v_or_b32_e32 v3, v23, v3
	s_wait_alu 0xfffd
	v_cndmask_b32_e64 v4, 0, 1, vcc_lo
	v_cmp_ne_u32_e32 vcc_lo, 0, v15
	v_lshl_or_b32 v23, v18, 12, v21
	v_mul_f64_e32 v[6:7], s[10:11], v[6:7]
	s_delay_alu instid0(VALU_DEP_4)
	v_and_or_b32 v17, 0xffe, v17, v4
	s_wait_alu 0xfffd
	v_cndmask_b32_e64 v15, 0, 1, vcc_lo
	v_sub_nc_u32_e32 v4, 0x3f1, v22
	v_cmp_gt_i32_e32 vcc_lo, 1, v18
	v_mul_f64_e32 v[9:10], s[10:11], v[9:10]
	v_or_b32_e32 v24, 0x1000, v17
	v_lshl_or_b32 v15, v15, 9, 0x7c00
	v_med3_i32 v25, v4, 0, 13
	s_wait_alu 0xfffd
	v_cndmask_b32_e32 v23, v23, v3, vcc_lo
	v_cmp_eq_u32_e32 vcc_lo, 0x40f, v19
	ds_load_2addr_b32 v[3:4], v170 offset0:88 offset1:178
	v_and_b32_e32 v19, 7, v23
	s_wait_alu 0xfffd
	v_cndmask_b32_e32 v0, v0, v15, vcc_lo
	v_lshrrev_b32_e32 v15, v25, v24
	v_lshrrev_b32_e32 v11, 2, v23
	v_cmp_lt_i32_e32 vcc_lo, 5, v19
	v_cmp_eq_u32_e64 s0, 3, v19
	s_delay_alu instid0(VALU_DEP_4)
	v_lshlrev_b32_e32 v20, v25, v15
	scratch_load_b32 v25, off, off offset:24 th:TH_LOAD_LU ; 4-byte Folded Reload
	v_and_or_b32 v0, 0x8000, v12, v0
	v_add_nc_u32_e32 v19, 0xfffffc10, v22
	s_or_b32 vcc_lo, s0, vcc_lo
	v_cmp_ne_u32_e64 s1, v20, v24
	s_wait_alu 0xfffe
	v_add_co_ci_u32_e32 v11, vcc_lo, 0, v11, vcc_lo
	v_cmp_ne_u32_e32 vcc_lo, 0, v21
	v_lshl_or_b32 v0, v0, 16, v16
	s_wait_alu 0xf1ff
	v_cndmask_b32_e64 v12, 0, 1, s1
	s_wait_dscnt 0x0
	v_lshrrev_b32_e32 v20, 16, v3
	v_cmp_eq_u32_e64 s1, 0x40f, v18
	s_wait_alu 0xfffd
	v_cndmask_b32_e64 v21, 0, 1, vcc_lo
	v_cmp_gt_i32_e32 vcc_lo, 1, v19
	v_or_b32_e32 v12, v15, v12
	v_lshl_or_b32 v15, v19, 12, v17
	v_and_or_b32 v6, 0x1ff, v7, v6
	v_lshrrev_b32_e32 v23, 8, v7
	v_bfe_u32 v24, v7, 20, 11
	v_lshl_or_b32 v21, v21, 9, 0x7c00
	s_wait_alu 0xfffd
	v_cndmask_b32_e32 v15, v15, v12, vcc_lo
	v_cmp_gt_i32_e32 vcc_lo, 31, v18
	v_mul_f16_e32 v12, v26, v20
	v_and_or_b32 v9, 0x1ff, v10, v9
	v_bfe_u32 v27, v10, 20, 11
	s_wait_alu 0xfffd
	v_cndmask_b32_e32 v22, 0x7c00, v11, vcc_lo
	v_and_b32_e32 v11, 7, v15
	v_cmp_ne_u32_e32 vcc_lo, 0, v6
	v_lshrrev_b32_e32 v15, 2, v15
	s_wait_alu 0xf1ff
	v_cndmask_b32_e64 v18, v22, v21, s1
	v_cmp_eq_u32_e64 s0, 3, v11
	s_wait_alu 0xfffd
	v_cndmask_b32_e64 v6, 0, 1, vcc_lo
	v_cmp_lt_i32_e32 vcc_lo, 5, v11
	s_delay_alu instid0(VALU_DEP_2)
	v_and_or_b32 v6, 0xffe, v23, v6
	s_or_b32 vcc_lo, s0, vcc_lo
	v_sub_nc_u32_e32 v23, 0x3f1, v24
	s_wait_alu 0xfffe
	v_add_co_ci_u32_e32 v15, vcc_lo, 0, v15, vcc_lo
	v_cmp_ne_u32_e32 vcc_lo, 0, v17
	v_or_b32_e32 v21, 0x1000, v6
	v_med3_i32 v22, v23, 0, 13
	s_wait_alu 0xfffd
	v_cndmask_b32_e64 v17, 0, 1, vcc_lo
	v_cmp_gt_i32_e32 vcc_lo, 31, v19
	s_delay_alu instid0(VALU_DEP_3) | instskip(NEXT) | instid1(VALU_DEP_3)
	v_lshrrev_b32_e32 v23, v22, v21
	v_lshl_or_b32 v17, v17, 9, 0x7c00
	s_wait_alu 0xfffd
	v_cndmask_b32_e32 v15, 0x7c00, v15, vcc_lo
	v_cmp_ne_u32_e32 vcc_lo, 0, v9
	v_lshlrev_b32_e32 v22, v22, v23
	s_wait_loadcnt 0x0
	v_fmac_f16_e32 v12, v25, v3
	v_mul_f16_e32 v3, v26, v3
	v_lshrrev_b32_e32 v26, 8, v10
	v_lshrrev_b32_e32 v10, 16, v10
	s_delay_alu instid0(VALU_DEP_4) | instskip(NEXT) | instid1(VALU_DEP_4)
	v_cvt_f32_f16_e32 v12, v12
	v_fma_f16 v3, v25, v20, -v3
	s_wait_alu 0xfffd
	v_cndmask_b32_e64 v25, 0, 1, vcc_lo
	v_cmp_ne_u32_e32 vcc_lo, v22, v21
	v_lshrrev_b32_e32 v20, 16, v8
	v_cvt_f64_f32_e32 v[11:12], v12
	v_cvt_f32_f16_e32 v3, v3
	v_and_or_b32 v22, 0xffe, v26, v25
	s_clause 0x1
	scratch_load_b32 v25, off, off offset:20 th:TH_LOAD_LU
	scratch_load_b32 v26, off, off offset:16 th:TH_LOAD_LU
	v_add_nc_u32_e32 v21, 0xfffffc10, v24
	v_cvt_f64_f32_e32 v[8:9], v3
	s_wait_alu 0xfffd
	v_cndmask_b32_e64 v3, 0, 1, vcc_lo
	v_cmp_eq_u32_e32 vcc_lo, 0x40f, v19
	v_sub_nc_u32_e32 v24, 0x3f1, v27
	v_or_b32_e32 v19, 0x1000, v22
	v_and_or_b32 v18, 0x8000, v20, v18
	v_or_b32_e32 v3, v23, v3
	s_wait_alu 0xfffd
	v_cndmask_b32_e32 v15, v15, v17, vcc_lo
	v_lshl_or_b32 v17, v21, 12, v6
	v_cmp_gt_i32_e32 vcc_lo, 1, v21
	v_med3_i32 v23, v24, 0, 13
	v_lshrrev_b32_e32 v20, 16, v2
	v_and_or_b32 v5, 0x8000, v5, v15
	v_and_b32_e32 v15, 0xffff, v18
	s_wait_alu 0xfffd
	v_cndmask_b32_e32 v3, v17, v3, vcc_lo
	v_lshrrev_b32_e32 v17, v23, v19
	v_add_co_u32 v13, vcc_lo, v13, s14
	s_wait_alu 0xfffd
	v_add_co_ci_u32_e32 v14, vcc_lo, s15, v14, vcc_lo
	v_and_b32_e32 v16, 7, v3
	v_lshlrev_b32_e32 v18, v23, v17
	v_lshrrev_b32_e32 v3, 2, v3
	v_lshl_or_b32 v23, v5, 16, v15
	s_delay_alu instid0(VALU_DEP_4) | instskip(SKIP_3) | instid1(VALU_DEP_3)
	v_cmp_lt_i32_e32 vcc_lo, 5, v16
	v_cmp_eq_u32_e64 s0, 3, v16
	v_cmp_ne_u32_e64 s1, v18, v19
	v_add_nc_u32_e32 v19, 0xfffffc10, v27
	s_or_b32 vcc_lo, s0, vcc_lo
	v_mul_f64_e32 v[11:12], s[10:11], v[11:12]
	s_wait_alu 0xfffe
	v_add_co_ci_u32_e32 v3, vcc_lo, 0, v3, vcc_lo
	v_cndmask_b32_e64 v18, 0, 1, s1
	v_cmp_ne_u32_e32 vcc_lo, 0, v6
	v_mul_f64_e32 v[8:9], s[10:11], v[8:9]
	s_delay_alu instid0(VALU_DEP_3)
	v_or_b32_e32 v17, v17, v18
	v_lshl_or_b32 v18, v19, 12, v22
	s_wait_alu 0xfffd
	v_cndmask_b32_e64 v6, 0, 1, vcc_lo
	v_cmp_gt_i32_e32 vcc_lo, 1, v19
	s_wait_alu 0xfffd
	v_cndmask_b32_e32 v17, v18, v17, vcc_lo
	v_cmp_gt_i32_e32 vcc_lo, 31, v21
	v_lshl_or_b32 v18, v6, 9, 0x7c00
	s_wait_alu 0xfffd
	s_delay_alu instid0(VALU_DEP_3)
	v_dual_cndmask_b32 v3, 0x7c00, v3 :: v_dual_and_b32 v24, 7, v17
	v_add_co_u32 v5, vcc_lo, v13, s8
	s_wait_alu 0xfffd
	v_add_co_ci_u32_e32 v6, vcc_lo, s9, v14, vcc_lo
	v_cmp_eq_u32_e32 vcc_lo, 0x40f, v21
	s_wait_alu 0xfffd
	v_cndmask_b32_e32 v18, v3, v18, vcc_lo
	v_cmp_lt_i32_e32 vcc_lo, 5, v24
	v_and_or_b32 v11, 0x1ff, v12, v11
	v_bfe_u32 v21, v12, 20, 11
	s_delay_alu instid0(VALU_DEP_2)
	v_cmp_ne_u32_e64 s0, 0, v11
	v_lshrrev_b32_e32 v11, 8, v12
	v_and_or_b32 v8, 0x1ff, v9, v8
	v_lshrrev_b32_e32 v12, 16, v12
	s_wait_alu 0xf1ff
	v_cndmask_b32_e64 v3, 0, 1, s0
	v_cmp_eq_u32_e64 s0, 3, v24
	v_lshrrev_b32_e32 v24, 16, v7
	v_lshrrev_b32_e32 v7, 2, v17
	s_delay_alu instid0(VALU_DEP_4) | instskip(NEXT) | instid1(VALU_DEP_4)
	v_and_or_b32 v17, 0xffe, v11, v3
	s_or_b32 vcc_lo, s0, vcc_lo
	v_sub_nc_u32_e32 v3, 0x3f1, v21
	s_wait_alu 0xfffe
	v_add_co_ci_u32_e32 v7, vcc_lo, 0, v7, vcc_lo
	v_cmp_ne_u32_e32 vcc_lo, 0, v22
	v_or_b32_e32 v11, 0x1000, v17
	v_med3_i32 v3, v3, 0, 13
	v_add_nc_u32_e32 v21, 0xfffffc10, v21
	v_and_or_b32 v18, 0x8000, v24, v18
	s_wait_alu 0xfffd
	v_cndmask_b32_e64 v22, 0, 1, vcc_lo
	v_cmp_gt_i32_e32 vcc_lo, 31, v19
	s_delay_alu instid0(VALU_DEP_3) | instskip(NEXT) | instid1(VALU_DEP_3)
	v_and_b32_e32 v18, 0xffff, v18
	v_lshl_or_b32 v22, v22, 9, 0x7c00
	s_wait_loadcnt 0x1
	v_mul_f16_e32 v16, v25, v20
	s_wait_loadcnt 0x0
	s_delay_alu instid0(VALU_DEP_1) | instskip(SKIP_2) | instid1(VALU_DEP_3)
	v_fmac_f16_e32 v16, v26, v2
	v_mul_f16_e32 v2, v25, v2
	v_lshrrev_b32_e32 v25, v3, v11
	v_cvt_f32_f16_e32 v16, v16
	s_delay_alu instid0(VALU_DEP_3)
	v_fma_f16 v20, v26, v20, -v2
	s_wait_alu 0xfffd
	v_cndmask_b32_e32 v26, 0x7c00, v7, vcc_lo
	v_cmp_ne_u32_e32 vcc_lo, 0, v8
	v_lshlrev_b32_e32 v27, v3, v25
	v_cvt_f64_f32_e32 v[15:16], v16
	v_cvt_f32_f16_e32 v7, v20
	v_bfe_u32 v20, v9, 20, 11
	s_delay_alu instid0(VALU_DEP_2) | instskip(NEXT) | instid1(VALU_DEP_4)
	v_cvt_f64_f32_e32 v[7:8], v7
	v_mul_f64_e32 v[2:3], s[10:11], v[15:16]
	s_wait_alu 0xfffd
	v_cndmask_b32_e64 v15, 0, 1, vcc_lo
	v_cmp_eq_u32_e32 vcc_lo, 0x40f, v19
	v_lshrrev_b32_e32 v16, 8, v9
	v_lshrrev_b32_e32 v9, 16, v9
	v_mul_f64_e32 v[7:8], s[10:11], v[7:8]
	s_wait_alu 0xfffd
	v_cndmask_b32_e32 v19, v26, v22, vcc_lo
	v_cmp_ne_u32_e32 vcc_lo, v27, v11
	v_and_or_b32 v15, 0xffe, v16, v15
	v_sub_nc_u32_e32 v16, 0x3f1, v20
	v_lshrrev_b32_e32 v26, 16, v1
	v_and_or_b32 v10, 0x8000, v10, v19
	s_wait_alu 0xfffd
	v_cndmask_b32_e64 v11, 0, 1, vcc_lo
	v_cmp_gt_i32_e32 vcc_lo, 1, v21
	v_or_b32_e32 v22, 0x1000, v15
	v_med3_i32 v16, v16, 0, 13
	s_delay_alu instid0(VALU_DEP_4) | instskip(SKIP_1) | instid1(VALU_DEP_3)
	v_or_b32_e32 v11, v25, v11
	v_lshl_or_b32 v25, v21, 12, v17
	v_lshrrev_b32_e32 v27, v16, v22
	s_wait_alu 0xfffd
	s_delay_alu instid0(VALU_DEP_2)
	v_cndmask_b32_e32 v24, v25, v11, vcc_lo
	scratch_load_b32 v25, off, off offset:8 th:TH_LOAD_LU ; 4-byte Folded Reload
	v_mul_f16_e32 v11, v28, v26
	global_store_b32 v[13:14], v0, off
	global_store_b32 v[5:6], v23, off
	v_lshlrev_b32_e32 v16, v16, v27
	v_and_b32_e32 v19, 7, v24
	v_lshl_or_b32 v0, v10, 16, v18
	v_add_nc_u32_e32 v14, 0xfffffc10, v20
	s_delay_alu instid0(VALU_DEP_4)
	v_cmp_ne_u32_e64 s0, v16, v22
	v_lshrrev_b32_e32 v16, 2, v24
	scratch_load_b32 v24, off, off th:TH_LOAD_LU ; 4-byte Folded Reload
	v_cmp_lt_i32_e32 vcc_lo, 5, v19
	v_lshl_or_b32 v18, v14, 12, v15
	s_wait_alu 0xf1ff
	v_cndmask_b32_e64 v13, 0, 1, s0
	v_cmp_eq_u32_e64 s0, 3, v19
	v_and_or_b32 v2, 0x1ff, v3, v2
	v_lshrrev_b32_e32 v19, 8, v3
	v_bfe_u32 v20, v3, 20, 11
	v_or_b32_e32 v13, v27, v13
	s_or_b32 vcc_lo, s0, vcc_lo
	v_cmp_ne_u32_e64 s1, 0, v2
	s_wait_alu 0xfffe
	v_add_co_ci_u32_e32 v16, vcc_lo, 0, v16, vcc_lo
	v_cmp_gt_i32_e32 vcc_lo, 1, v14
	v_and_or_b32 v7, 0x1ff, v8, v7
	s_wait_alu 0xf1ff
	v_cndmask_b32_e64 v2, 0, 1, s1
	v_cmp_eq_u32_e64 s1, 0x40f, v21
	v_lshrrev_b32_e32 v3, 16, v3
	s_wait_alu 0xfffd
	v_cndmask_b32_e32 v13, v18, v13, vcc_lo
	v_cmp_ne_u32_e32 vcc_lo, 0, v17
	v_and_or_b32 v18, 0xffe, v19, v2
	v_sub_nc_u32_e32 v2, 0x3f1, v20
	s_delay_alu instid0(VALU_DEP_4)
	v_and_b32_e32 v19, 7, v13
	s_wait_alu 0xfffd
	v_cndmask_b32_e64 v17, 0, 1, vcc_lo
	v_cmp_gt_i32_e32 vcc_lo, 31, v21
	v_or_b32_e32 v22, 0x1000, v18
	v_med3_i32 v2, v2, 0, 13
	v_cmp_eq_u32_e64 s0, 3, v19
	v_lshrrev_b32_e32 v13, 2, v13
	s_wait_alu 0xfffd
	v_cndmask_b32_e32 v16, 0x7c00, v16, vcc_lo
	v_cmp_lt_i32_e32 vcc_lo, 5, v19
	v_lshrrev_b32_e32 v23, v2, v22
	v_lshl_or_b32 v17, v17, 9, 0x7c00
	v_lshrrev_b32_e32 v21, 16, v4
	s_or_b32 vcc_lo, s0, vcc_lo
	s_delay_alu instid0(VALU_DEP_3)
	v_lshlrev_b32_e32 v2, v2, v23
	s_wait_alu 0xfffe
	v_add_co_ci_u32_e32 v13, vcc_lo, 0, v13, vcc_lo
	v_cmp_ne_u32_e32 vcc_lo, 0, v15
	v_cndmask_b32_e64 v16, v16, v17, s1
	v_add_nc_u32_e32 v17, 0xfffffc10, v20
	v_bfe_u32 v20, v8, 20, 11
	s_wait_alu 0xfffd
	v_cndmask_b32_e64 v15, 0, 1, vcc_lo
	v_cmp_ne_u32_e32 vcc_lo, v2, v22
	v_lshl_or_b32 v19, v17, 12, v18
	v_and_or_b32 v16, 0x8000, v12, v16
	s_delay_alu instid0(VALU_DEP_4) | instskip(SKIP_4) | instid1(VALU_DEP_3)
	v_lshl_or_b32 v15, v15, 9, 0x7c00
	s_wait_alu 0xfffd
	v_cndmask_b32_e64 v2, 0, 1, vcc_lo
	v_cmp_gt_i32_e32 vcc_lo, 31, v14
	v_and_b32_e32 v16, 0xffff, v16
	v_or_b32_e32 v2, v23, v2
	s_wait_alu 0xfffd
	v_cndmask_b32_e32 v13, 0x7c00, v13, vcc_lo
	v_cmp_gt_i32_e32 vcc_lo, 1, v17
	s_wait_alu 0xfffd
	v_cndmask_b32_e32 v12, v19, v2, vcc_lo
	v_cmp_ne_u32_e32 vcc_lo, 0, v7
	v_lshrrev_b32_e32 v19, 8, v8
	v_lshrrev_b32_e32 v8, 16, v8
	s_wait_alu 0xfffd
	v_cndmask_b32_e64 v7, 0, 1, vcc_lo
	v_cmp_eq_u32_e32 vcc_lo, 0x40f, v14
	s_wait_alu 0xfffd
	v_dual_cndmask_b32 v13, v13, v15 :: v_dual_and_b32 v14, 7, v12
	s_delay_alu instid0(VALU_DEP_3) | instskip(SKIP_1) | instid1(VALU_DEP_3)
	v_and_or_b32 v15, 0xffe, v19, v7
	v_sub_nc_u32_e32 v7, 0x3f1, v20
	v_cmp_lt_i32_e32 vcc_lo, 5, v14
	v_cmp_eq_u32_e64 s0, 3, v14
	v_and_or_b32 v14, 0x8000, v9, v13
	v_lshrrev_b32_e32 v9, 2, v12
	v_or_b32_e32 v22, 0x1000, v15
	v_med3_i32 v7, v7, 0, 13
	s_or_b32 vcc_lo, s0, vcc_lo
	v_add_nc_u32_e32 v20, 0xfffffc10, v20
	s_wait_alu 0xfffe
	v_add_co_ci_u32_e32 v23, vcc_lo, 0, v9, vcc_lo
	v_lshrrev_b32_e32 v12, v7, v22
	v_cmp_ne_u32_e32 vcc_lo, 0, v18
	v_lshl_or_b32 v14, v14, 16, v16
	s_delay_alu instid0(VALU_DEP_3) | instskip(SKIP_2) | instid1(VALU_DEP_1)
	v_lshlrev_b32_e32 v7, v7, v12
	s_wait_alu 0xfffd
	v_cndmask_b32_e64 v18, 0, 1, vcc_lo
	v_lshl_or_b32 v18, v18, 9, 0x7c00
	s_wait_loadcnt 0x1
	v_fmac_f16_e32 v11, v25, v1
	v_mul_f16_e32 v1, v28, v1
	s_delay_alu instid0(VALU_DEP_2) | instskip(NEXT) | instid1(VALU_DEP_2)
	v_cvt_f32_f16_e32 v10, v11
	v_fma_f16 v1, v25, v26, -v1
	scratch_load_b32 v25, off, off offset:4 th:TH_LOAD_LU ; 4-byte Folded Reload
	v_cvt_f64_f32_e32 v[10:11], v10
	v_cvt_f32_f16_e32 v1, v1
	s_delay_alu instid0(VALU_DEP_1) | instskip(NEXT) | instid1(VALU_DEP_3)
	v_cvt_f64_f32_e32 v[1:2], v1
	v_mul_f64_e32 v[10:11], s[10:11], v[10:11]
	s_delay_alu instid0(VALU_DEP_2) | instskip(NEXT) | instid1(VALU_DEP_1)
	v_mul_f64_e32 v[1:2], s[10:11], v[1:2]
	v_and_or_b32 v1, 0x1ff, v2, v1
	s_wait_loadcnt 0x0
	v_mul_f16_e32 v19, v25, v21
	s_delay_alu instid0(VALU_DEP_1) | instskip(SKIP_1) | instid1(VALU_DEP_2)
	v_fmac_f16_e32 v19, v24, v4
	v_mul_f16_e32 v4, v25, v4
	v_cvt_f32_f16_e32 v13, v19
	v_and_or_b32 v19, 0x1ff, v11, v10
	s_delay_alu instid0(VALU_DEP_3)
	v_fma_f16 v4, v24, v21, -v4
	v_bfe_u32 v21, v11, 20, 11
	v_lshl_or_b32 v24, v20, 12, v15
	v_cvt_f64_f32_e32 v[9:10], v13
	v_cmp_ne_u32_e32 vcc_lo, 0, v19
	v_lshrrev_b32_e32 v19, 8, v11
	v_cvt_f32_f16_e32 v4, v4
	v_lshrrev_b32_e32 v11, 16, v11
	s_wait_alu 0xfffd
	v_cndmask_b32_e64 v13, 0, 1, vcc_lo
	v_cmp_ne_u32_e32 vcc_lo, v7, v22
	v_sub_nc_u32_e32 v22, 0x3f1, v21
	s_delay_alu instid0(VALU_DEP_3)
	v_and_or_b32 v19, 0xffe, v19, v13
	s_wait_alu 0xfffd
	v_cndmask_b32_e64 v7, 0, 1, vcc_lo
	v_cmp_gt_i32_e32 vcc_lo, 31, v17
	v_med3_i32 v22, v22, 0, 13
	v_or_b32_e32 v25, 0x1000, v19
	s_delay_alu instid0(VALU_DEP_4)
	v_or_b32_e32 v7, v12, v7
	v_cvt_f64_f32_e32 v[12:13], v4
	s_wait_alu 0xfffd
	v_cndmask_b32_e32 v23, 0x7c00, v23, vcc_lo
	v_cmp_gt_i32_e32 vcc_lo, 1, v20
	v_lshrrev_b32_e32 v26, v22, v25
	s_wait_alu 0xfffd
	v_cndmask_b32_e32 v24, v24, v7, vcc_lo
	v_add_co_u32 v4, vcc_lo, v5, s14
	s_wait_alu 0xfffd
	v_add_co_ci_u32_e32 v5, vcc_lo, s15, v6, vcc_lo
	s_delay_alu instid0(VALU_DEP_3) | instskip(SKIP_3) | instid1(VALU_DEP_4)
	v_and_b32_e32 v6, 7, v24
	v_cmp_eq_u32_e32 vcc_lo, 0x40f, v17
	v_lshlrev_b32_e32 v22, v22, v26
	v_add_nc_u32_e32 v17, 0xfffffc10, v21
	v_cmp_eq_u32_e64 s0, 3, v6
	s_wait_alu 0xfffd
	v_cndmask_b32_e32 v16, v23, v18, vcc_lo
	v_cmp_lt_i32_e32 vcc_lo, 5, v6
	v_mul_f64_e32 v[6:7], s[10:11], v[9:10]
	v_lshrrev_b32_e32 v9, 2, v24
	v_cmp_ne_u32_e64 s1, v22, v25
	v_lshl_or_b32 v21, v17, 12, v19
	s_or_b32 vcc_lo, s0, vcc_lo
	v_bfe_u32 v23, v2, 20, 11
	s_wait_alu 0xfffe
	v_add_co_ci_u32_e32 v9, vcc_lo, 0, v9, vcc_lo
	v_cmp_ne_u32_e32 vcc_lo, 0, v15
	v_cndmask_b32_e64 v10, 0, 1, s1
	v_and_or_b32 v3, 0x8000, v3, v16
	s_wait_alu 0xfffd
	v_cndmask_b32_e64 v15, 0, 1, vcc_lo
	v_cmp_gt_i32_e32 vcc_lo, 31, v20
	v_or_b32_e32 v18, v26, v10
	v_and_b32_e32 v3, 0xffff, v3
	s_delay_alu instid0(VALU_DEP_4)
	v_lshl_or_b32 v15, v15, 9, 0x7c00
	s_wait_alu 0xfffd
	v_cndmask_b32_e32 v22, 0x7c00, v9, vcc_lo
	v_mul_f64_e32 v[9:10], s[10:11], v[12:13]
	v_add_co_u32 v12, vcc_lo, v4, s14
	s_wait_alu 0xfffd
	v_add_co_ci_u32_e32 v13, vcc_lo, s15, v5, vcc_lo
	v_cmp_gt_i32_e32 vcc_lo, 1, v17
	s_wait_alu 0xfffd
	v_cndmask_b32_e32 v18, v21, v18, vcc_lo
	v_cmp_ne_u32_e32 vcc_lo, 0, v1
	v_lshrrev_b32_e32 v21, 8, v2
	v_lshrrev_b32_e32 v2, 16, v2
	s_wait_alu 0xfffd
	v_cndmask_b32_e64 v1, 0, 1, vcc_lo
	v_cmp_eq_u32_e32 vcc_lo, 0x40f, v20
	v_and_b32_e32 v20, 7, v18
	v_lshrrev_b32_e32 v18, 2, v18
	v_and_or_b32 v6, 0x1ff, v7, v6
	v_and_or_b32 v1, 0xffe, v21, v1
	s_wait_alu 0xfffd
	v_cndmask_b32_e32 v15, v22, v15, vcc_lo
	v_sub_nc_u32_e32 v21, 0x3f1, v23
	v_cmp_lt_i32_e32 vcc_lo, 5, v20
	v_cmp_eq_u32_e64 s0, 3, v20
	v_bfe_u32 v22, v7, 20, 11
	v_and_or_b32 v8, 0x8000, v8, v15
	v_or_b32_e32 v15, 0x1000, v1
	v_med3_i32 v16, v21, 0, 13
	s_or_b32 vcc_lo, s0, vcc_lo
	v_lshrrev_b32_e32 v21, 8, v7
	s_wait_alu 0xfffe
	v_add_co_ci_u32_e32 v18, vcc_lo, 0, v18, vcc_lo
	v_lshrrev_b32_e32 v20, v16, v15
	v_cmp_ne_u32_e32 vcc_lo, 0, v6
	v_lshrrev_b32_e32 v7, 16, v7
	v_lshl_or_b32 v3, v8, 16, v3
	v_and_or_b32 v9, 0x1ff, v10, v9
	v_lshlrev_b32_e32 v16, v16, v20
	s_wait_alu 0xfffd
	v_cndmask_b32_e64 v6, 0, 1, vcc_lo
	v_cmp_ne_u32_e32 vcc_lo, 0, v19
	v_lshrrev_b32_e32 v24, 8, v10
	v_bfe_u32 v25, v10, 20, 11
	s_delay_alu instid0(VALU_DEP_4)
	v_and_or_b32 v6, 0xffe, v21, v6
	s_wait_alu 0xfffd
	v_cndmask_b32_e64 v19, 0, 1, vcc_lo
	v_cmp_ne_u32_e32 vcc_lo, v16, v15
	v_sub_nc_u32_e32 v21, 0x3f1, v22
	v_add_nc_u32_e32 v16, 0xfffffc10, v23
	v_or_b32_e32 v23, 0x1000, v6
	v_lshl_or_b32 v19, v19, 9, 0x7c00
	s_wait_alu 0xfffd
	v_cndmask_b32_e64 v15, 0, 1, vcc_lo
	v_cmp_gt_i32_e32 vcc_lo, 31, v17
	v_med3_i32 v21, v21, 0, 13
	s_delay_alu instid0(VALU_DEP_3)
	v_or_b32_e32 v15, v20, v15
	s_wait_alu 0xfffd
	v_cndmask_b32_e32 v18, 0x7c00, v18, vcc_lo
	v_cmp_ne_u32_e32 vcc_lo, 0, v9
	v_lshl_or_b32 v20, v16, 12, v1
	v_lshrrev_b32_e32 v26, v21, v23
	s_wait_alu 0xfffd
	v_cndmask_b32_e64 v9, 0, 1, vcc_lo
	v_cmp_gt_i32_e32 vcc_lo, 1, v16
	s_delay_alu instid0(VALU_DEP_2)
	v_and_or_b32 v9, 0xffe, v24, v9
	v_sub_nc_u32_e32 v24, 0x3f1, v25
	s_wait_alu 0xfffd
	v_dual_cndmask_b32 v15, v20, v15 :: v_dual_lshlrev_b32 v20, v21, v26
	v_cmp_eq_u32_e32 vcc_lo, 0x40f, v17
	v_or_b32_e32 v21, 0x1000, v9
	v_med3_i32 v24, v24, 0, 13
	s_delay_alu instid0(VALU_DEP_4)
	v_and_b32_e32 v27, 7, v15
	v_lshrrev_b32_e32 v15, 2, v15
	s_wait_alu 0xfffd
	v_cndmask_b32_e32 v17, v18, v19, vcc_lo
	v_cmp_ne_u32_e32 vcc_lo, v20, v23
	v_add_nc_u32_e32 v19, 0xfffffc10, v22
	v_lshrrev_b32_e32 v20, v24, v21
	v_cmp_eq_u32_e64 s0, 3, v27
	v_and_or_b32 v11, 0x8000, v11, v17
	s_wait_alu 0xfffd
	v_cndmask_b32_e64 v18, 0, 1, vcc_lo
	v_lshl_or_b32 v22, v19, 12, v6
	v_lshlrev_b32_e32 v23, v24, v20
	v_cmp_gt_i32_e64 s1, 1, v19
	v_cmp_lt_i32_e32 vcc_lo, 5, v27
	v_or_b32_e32 v18, v26, v18
	v_and_b32_e32 v11, 0xffff, v11
	s_or_b32 vcc_lo, s0, vcc_lo
	s_delay_alu instid0(VALU_DEP_2)
	v_cndmask_b32_e64 v18, v22, v18, s1
	v_cmp_ne_u32_e64 s1, v23, v21
	v_add_nc_u32_e32 v22, 0xfffffc10, v25
	s_wait_alu 0xfffe
	v_add_co_ci_u32_e32 v15, vcc_lo, 0, v15, vcc_lo
	v_and_b32_e32 v23, 7, v18
	s_wait_alu 0xf1ff
	v_cndmask_b32_e64 v21, 0, 1, s1
	v_cmp_ne_u32_e32 vcc_lo, 0, v1
	v_cmp_gt_i32_e64 s0, 1, v22
	v_lshrrev_b32_e32 v18, 2, v18
	v_cmp_gt_i32_e64 s1, 31, v16
	v_or_b32_e32 v20, v20, v21
	v_lshl_or_b32 v21, v22, 12, v9
	s_wait_alu 0xfffd
	v_cndmask_b32_e64 v1, 0, 1, vcc_lo
	v_cmp_lt_i32_e32 vcc_lo, 5, v23
	s_wait_alu 0xf1ff
	v_cndmask_b32_e64 v15, 0x7c00, v15, s1
	v_cmp_eq_u32_e64 s1, 0x40f, v16
	v_cndmask_b32_e64 v17, v21, v20, s0
	v_cmp_eq_u32_e64 s0, 3, v23
	v_lshl_or_b32 v1, v1, 9, 0x7c00
	s_delay_alu instid0(VALU_DEP_3) | instskip(NEXT) | instid1(VALU_DEP_3)
	v_and_b32_e32 v20, 7, v17
	s_or_b32 vcc_lo, s0, vcc_lo
	s_delay_alu instid0(VALU_DEP_2)
	v_cndmask_b32_e64 v1, v15, v1, s1
	s_wait_alu 0xfffe
	v_add_co_ci_u32_e32 v18, vcc_lo, 0, v18, vcc_lo
	v_cmp_ne_u32_e32 vcc_lo, 0, v6
	v_cmp_eq_u32_e64 s0, 3, v20
	v_lshrrev_b32_e32 v15, 2, v17
	v_cmp_gt_i32_e64 s1, 31, v19
	v_and_or_b32 v8, 0x8000, v2, v1
	s_wait_alu 0xfffd
	v_cndmask_b32_e64 v6, 0, 1, vcc_lo
	v_cmp_lt_i32_e32 vcc_lo, 5, v20
	s_wait_alu 0xf1ff
	v_cndmask_b32_e64 v16, 0x7c00, v18, s1
	s_delay_alu instid0(VALU_DEP_3)
	v_lshl_or_b32 v6, v6, 9, 0x7c00
	s_or_b32 vcc_lo, s0, vcc_lo
	s_wait_alu 0xfffe
	v_add_co_ci_u32_e32 v15, vcc_lo, 0, v15, vcc_lo
	v_cmp_ne_u32_e32 vcc_lo, 0, v9
	s_wait_alu 0xfffd
	v_cndmask_b32_e64 v9, 0, 1, vcc_lo
	v_cmp_eq_u32_e32 vcc_lo, 0x40f, v19
	s_delay_alu instid0(VALU_DEP_2) | instskip(SKIP_3) | instid1(VALU_DEP_2)
	v_lshl_or_b32 v9, v9, 9, 0x7c00
	s_wait_alu 0xfffd
	v_cndmask_b32_e32 v6, v16, v6, vcc_lo
	v_cmp_gt_i32_e32 vcc_lo, 31, v22
	v_and_or_b32 v6, 0x8000, v7, v6
	s_wait_alu 0xfffd
	v_cndmask_b32_e32 v15, 0x7c00, v15, vcc_lo
	v_cmp_eq_u32_e32 vcc_lo, 0x40f, v22
	s_wait_alu 0xfffd
	s_delay_alu instid0(VALU_DEP_2)
	v_cndmask_b32_e32 v7, v15, v9, vcc_lo
	v_lshrrev_b32_e32 v9, 16, v10
	v_add_co_u32 v1, vcc_lo, v12, s8
	s_wait_alu 0xfffd
	v_add_co_ci_u32_e32 v2, vcc_lo, s9, v13, vcc_lo
	v_lshl_or_b32 v10, v8, 16, v11
	v_and_or_b32 v8, 0x8000, v9, v7
	v_and_b32_e32 v9, 0xffff, v6
	v_add_co_u32 v6, vcc_lo, v1, s14
	s_wait_alu 0xfffd
	v_add_co_ci_u32_e32 v7, vcc_lo, s15, v2, vcc_lo
	s_delay_alu instid0(VALU_DEP_3) | instskip(NEXT) | instid1(VALU_DEP_3)
	v_lshl_or_b32 v11, v8, 16, v9
	v_add_co_u32 v8, vcc_lo, v6, s14
	s_wait_alu 0xfffd
	s_delay_alu instid0(VALU_DEP_3)
	v_add_co_ci_u32_e32 v9, vcc_lo, s15, v7, vcc_lo
	global_store_b32 v[4:5], v0, off
	global_store_b32 v[12:13], v14, off
	;; [unrolled: 1-line block ×5, first 2 shown]
.LBB0_2:
	s_nop 0
	s_sendmsg sendmsg(MSG_DEALLOC_VGPRS)
	s_endpgm
	.section	.rodata,"a",@progbits
	.p2align	6, 0x0
	.amdhsa_kernel bluestein_single_fwd_len2700_dim1_half_op_CI_CI
		.amdhsa_group_segment_fixed_size 10800
		.amdhsa_private_segment_fixed_size 276
		.amdhsa_kernarg_size 104
		.amdhsa_user_sgpr_count 2
		.amdhsa_user_sgpr_dispatch_ptr 0
		.amdhsa_user_sgpr_queue_ptr 0
		.amdhsa_user_sgpr_kernarg_segment_ptr 1
		.amdhsa_user_sgpr_dispatch_id 0
		.amdhsa_user_sgpr_private_segment_size 0
		.amdhsa_wavefront_size32 1
		.amdhsa_uses_dynamic_stack 0
		.amdhsa_enable_private_segment 1
		.amdhsa_system_sgpr_workgroup_id_x 1
		.amdhsa_system_sgpr_workgroup_id_y 0
		.amdhsa_system_sgpr_workgroup_id_z 0
		.amdhsa_system_sgpr_workgroup_info 0
		.amdhsa_system_vgpr_workitem_id 0
		.amdhsa_next_free_vgpr 256
		.amdhsa_next_free_sgpr 20
		.amdhsa_reserve_vcc 1
		.amdhsa_float_round_mode_32 0
		.amdhsa_float_round_mode_16_64 0
		.amdhsa_float_denorm_mode_32 3
		.amdhsa_float_denorm_mode_16_64 3
		.amdhsa_fp16_overflow 0
		.amdhsa_workgroup_processor_mode 1
		.amdhsa_memory_ordered 1
		.amdhsa_forward_progress 0
		.amdhsa_round_robin_scheduling 0
		.amdhsa_exception_fp_ieee_invalid_op 0
		.amdhsa_exception_fp_denorm_src 0
		.amdhsa_exception_fp_ieee_div_zero 0
		.amdhsa_exception_fp_ieee_overflow 0
		.amdhsa_exception_fp_ieee_underflow 0
		.amdhsa_exception_fp_ieee_inexact 0
		.amdhsa_exception_int_div_zero 0
	.end_amdhsa_kernel
	.text
.Lfunc_end0:
	.size	bluestein_single_fwd_len2700_dim1_half_op_CI_CI, .Lfunc_end0-bluestein_single_fwd_len2700_dim1_half_op_CI_CI
                                        ; -- End function
	.section	.AMDGPU.csdata,"",@progbits
; Kernel info:
; codeLenInByte = 61804
; NumSgprs: 22
; NumVgprs: 256
; ScratchSize: 276
; MemoryBound: 0
; FloatMode: 240
; IeeeMode: 1
; LDSByteSize: 10800 bytes/workgroup (compile time only)
; SGPRBlocks: 2
; VGPRBlocks: 31
; NumSGPRsForWavesPerEU: 22
; NumVGPRsForWavesPerEU: 256
; Occupancy: 5
; WaveLimiterHint : 1
; COMPUTE_PGM_RSRC2:SCRATCH_EN: 1
; COMPUTE_PGM_RSRC2:USER_SGPR: 2
; COMPUTE_PGM_RSRC2:TRAP_HANDLER: 0
; COMPUTE_PGM_RSRC2:TGID_X_EN: 1
; COMPUTE_PGM_RSRC2:TGID_Y_EN: 0
; COMPUTE_PGM_RSRC2:TGID_Z_EN: 0
; COMPUTE_PGM_RSRC2:TIDIG_COMP_CNT: 0
	.text
	.p2alignl 7, 3214868480
	.fill 96, 4, 3214868480
	.type	__hip_cuid_3b2c60d1624f0cc,@object ; @__hip_cuid_3b2c60d1624f0cc
	.section	.bss,"aw",@nobits
	.globl	__hip_cuid_3b2c60d1624f0cc
__hip_cuid_3b2c60d1624f0cc:
	.byte	0                               ; 0x0
	.size	__hip_cuid_3b2c60d1624f0cc, 1

	.ident	"AMD clang version 19.0.0git (https://github.com/RadeonOpenCompute/llvm-project roc-6.4.0 25133 c7fe45cf4b819c5991fe208aaa96edf142730f1d)"
	.section	".note.GNU-stack","",@progbits
	.addrsig
	.addrsig_sym __hip_cuid_3b2c60d1624f0cc
	.amdgpu_metadata
---
amdhsa.kernels:
  - .args:
      - .actual_access:  read_only
        .address_space:  global
        .offset:         0
        .size:           8
        .value_kind:     global_buffer
      - .actual_access:  read_only
        .address_space:  global
        .offset:         8
        .size:           8
        .value_kind:     global_buffer
      - .actual_access:  read_only
        .address_space:  global
        .offset:         16
        .size:           8
        .value_kind:     global_buffer
      - .actual_access:  read_only
        .address_space:  global
        .offset:         24
        .size:           8
        .value_kind:     global_buffer
      - .actual_access:  read_only
        .address_space:  global
        .offset:         32
        .size:           8
        .value_kind:     global_buffer
      - .offset:         40
        .size:           8
        .value_kind:     by_value
      - .address_space:  global
        .offset:         48
        .size:           8
        .value_kind:     global_buffer
      - .address_space:  global
        .offset:         56
        .size:           8
        .value_kind:     global_buffer
      - .address_space:  global
        .offset:         64
        .size:           8
        .value_kind:     global_buffer
      - .address_space:  global
        .offset:         72
        .size:           8
        .value_kind:     global_buffer
      - .offset:         80
        .size:           4
        .value_kind:     by_value
      - .address_space:  global
        .offset:         88
        .size:           8
        .value_kind:     global_buffer
      - .address_space:  global
        .offset:         96
        .size:           8
        .value_kind:     global_buffer
    .group_segment_fixed_size: 10800
    .kernarg_segment_align: 8
    .kernarg_segment_size: 104
    .language:       OpenCL C
    .language_version:
      - 2
      - 0
    .max_flat_workgroup_size: 90
    .name:           bluestein_single_fwd_len2700_dim1_half_op_CI_CI
    .private_segment_fixed_size: 276
    .sgpr_count:     22
    .sgpr_spill_count: 0
    .symbol:         bluestein_single_fwd_len2700_dim1_half_op_CI_CI.kd
    .uniform_work_group_size: 1
    .uses_dynamic_stack: false
    .vgpr_count:     256
    .vgpr_spill_count: 68
    .wavefront_size: 32
    .workgroup_processor_mode: 1
amdhsa.target:   amdgcn-amd-amdhsa--gfx1201
amdhsa.version:
  - 1
  - 2
...

	.end_amdgpu_metadata
